;; amdgpu-corpus repo=ROCm/flash-attention kind=compiled arch=gfx950 opt=O3
	.amdgcn_target "amdgcn-amd-amdhsa--gfx950"
	.amdhsa_code_object_version 6
	.section	.text._ZN7ck_tileL11flush_cacheEv,"axG",@progbits,_ZN7ck_tileL11flush_cacheEv,comdat
	.globl	_ZN7ck_tileL11flush_cacheEv     ; -- Begin function _ZN7ck_tileL11flush_cacheEv
	.p2align	8
	.type	_ZN7ck_tileL11flush_cacheEv,@function
_ZN7ck_tileL11flush_cacheEv:            ; @_ZN7ck_tileL11flush_cacheEv
; %bb.0:
	;;#ASMSTART
	s_icache_inv 
	s_nop 0 
	s_nop 0 
	;; [unrolled: 1-line block ×16, first 2 shown]
	
	;;#ASMEND
	s_endpgm
	.section	.rodata,"a",@progbits
	.p2align	6, 0x0
	.amdhsa_kernel _ZN7ck_tileL11flush_cacheEv
		.amdhsa_group_segment_fixed_size 0
		.amdhsa_private_segment_fixed_size 0
		.amdhsa_kernarg_size 0
		.amdhsa_user_sgpr_count 0
		.amdhsa_user_sgpr_dispatch_ptr 0
		.amdhsa_user_sgpr_queue_ptr 0
		.amdhsa_user_sgpr_kernarg_segment_ptr 0
		.amdhsa_user_sgpr_dispatch_id 0
		.amdhsa_user_sgpr_kernarg_preload_length 0
		.amdhsa_user_sgpr_kernarg_preload_offset 0
		.amdhsa_user_sgpr_private_segment_size 0
		.amdhsa_uses_dynamic_stack 0
		.amdhsa_enable_private_segment 0
		.amdhsa_system_sgpr_workgroup_id_x 1
		.amdhsa_system_sgpr_workgroup_id_y 0
		.amdhsa_system_sgpr_workgroup_id_z 0
		.amdhsa_system_sgpr_workgroup_info 0
		.amdhsa_system_vgpr_workitem_id 0
		.amdhsa_next_free_vgpr 1
		.amdhsa_next_free_sgpr 0
		.amdhsa_accum_offset 4
		.amdhsa_reserve_vcc 0
		.amdhsa_float_round_mode_32 0
		.amdhsa_float_round_mode_16_64 0
		.amdhsa_float_denorm_mode_32 0
		.amdhsa_float_denorm_mode_16_64 3
		.amdhsa_dx10_clamp 1
		.amdhsa_ieee_mode 1
		.amdhsa_fp16_overflow 0
		.amdhsa_tg_split 0
		.amdhsa_exception_fp_ieee_invalid_op 0
		.amdhsa_exception_fp_denorm_src 0
		.amdhsa_exception_fp_ieee_div_zero 0
		.amdhsa_exception_fp_ieee_overflow 0
		.amdhsa_exception_fp_ieee_underflow 0
		.amdhsa_exception_fp_ieee_inexact 0
		.amdhsa_exception_int_div_zero 0
	.end_amdhsa_kernel
	.section	.text._ZN7ck_tileL11flush_cacheEv,"axG",@progbits,_ZN7ck_tileL11flush_cacheEv,comdat
.Lfunc_end0:
	.size	_ZN7ck_tileL11flush_cacheEv, .Lfunc_end0-_ZN7ck_tileL11flush_cacheEv
                                        ; -- End function
	.set _ZN7ck_tileL11flush_cacheEv.num_vgpr, 0
	.set _ZN7ck_tileL11flush_cacheEv.num_agpr, 0
	.set _ZN7ck_tileL11flush_cacheEv.numbered_sgpr, 0
	.set _ZN7ck_tileL11flush_cacheEv.num_named_barrier, 0
	.set _ZN7ck_tileL11flush_cacheEv.private_seg_size, 0
	.set _ZN7ck_tileL11flush_cacheEv.uses_vcc, 0
	.set _ZN7ck_tileL11flush_cacheEv.uses_flat_scratch, 0
	.set _ZN7ck_tileL11flush_cacheEv.has_dyn_sized_stack, 0
	.set _ZN7ck_tileL11flush_cacheEv.has_recursion, 0
	.set _ZN7ck_tileL11flush_cacheEv.has_indirect_call, 0
	.section	.AMDGPU.csdata,"",@progbits
; Kernel info:
; codeLenInByte = 276
; TotalNumSgprs: 6
; NumVgprs: 0
; NumAgprs: 0
; TotalNumVgprs: 0
; ScratchSize: 0
; MemoryBound: 0
; FloatMode: 192
; IeeeMode: 1
; LDSByteSize: 0 bytes/workgroup (compile time only)
; SGPRBlocks: 0
; VGPRBlocks: 0
; NumSGPRsForWavesPerEU: 6
; NumVGPRsForWavesPerEU: 1
; AccumOffset: 4
; Occupancy: 8
; WaveLimiterHint : 0
; COMPUTE_PGM_RSRC2:SCRATCH_EN: 0
; COMPUTE_PGM_RSRC2:USER_SGPR: 0
; COMPUTE_PGM_RSRC2:TRAP_HANDLER: 0
; COMPUTE_PGM_RSRC2:TGID_X_EN: 1
; COMPUTE_PGM_RSRC2:TGID_Y_EN: 0
; COMPUTE_PGM_RSRC2:TGID_Z_EN: 0
; COMPUTE_PGM_RSRC2:TIDIG_COMP_CNT: 0
; COMPUTE_PGM_RSRC3_GFX90A:ACCUM_OFFSET: 0
; COMPUTE_PGM_RSRC3_GFX90A:TG_SPLIT: 0
	.section	.text._ZN7ck_tile6kentryINS_6gfx9_tELi2ENS_27FmhaFwdSplitKVCombineKernelINS_34BlockFmhaFwdSplitKVCombinePipelineINS_38BlockFmhaSplitKVCombinePipelineProblemIffDF16bLi256ELb0ELi32ENS_31TileFmhaFwdSplitKVCombineTraitsILb0ELb0ELb1ELb0ELi3ELin1EEEEENS_47BlockFmhaFwdSplitKVCombinePipelineDefaultPolicyEEENS_17Default2DEpilogueINS_24Default2DEpilogueProblemIfDF16bLb0ELb0ELb1EEEvEEEEJNSE_14BatchModeKargsEEEENSt9enable_ifIXnt26kattr_no_packed_fp32_ops_vIT_EEvE4typeEDpT2_,"axG",@progbits,_ZN7ck_tile6kentryINS_6gfx9_tELi2ENS_27FmhaFwdSplitKVCombineKernelINS_34BlockFmhaFwdSplitKVCombinePipelineINS_38BlockFmhaSplitKVCombinePipelineProblemIffDF16bLi256ELb0ELi32ENS_31TileFmhaFwdSplitKVCombineTraitsILb0ELb0ELb1ELb0ELi3ELin1EEEEENS_47BlockFmhaFwdSplitKVCombinePipelineDefaultPolicyEEENS_17Default2DEpilogueINS_24Default2DEpilogueProblemIfDF16bLb0ELb0ELb1EEEvEEEEJNSE_14BatchModeKargsEEEENSt9enable_ifIXnt26kattr_no_packed_fp32_ops_vIT_EEvE4typeEDpT2_,comdat
	.protected	_ZN7ck_tile6kentryINS_6gfx9_tELi2ENS_27FmhaFwdSplitKVCombineKernelINS_34BlockFmhaFwdSplitKVCombinePipelineINS_38BlockFmhaSplitKVCombinePipelineProblemIffDF16bLi256ELb0ELi32ENS_31TileFmhaFwdSplitKVCombineTraitsILb0ELb0ELb1ELb0ELi3ELin1EEEEENS_47BlockFmhaFwdSplitKVCombinePipelineDefaultPolicyEEENS_17Default2DEpilogueINS_24Default2DEpilogueProblemIfDF16bLb0ELb0ELb1EEEvEEEEJNSE_14BatchModeKargsEEEENSt9enable_ifIXnt26kattr_no_packed_fp32_ops_vIT_EEvE4typeEDpT2_ ; -- Begin function _ZN7ck_tile6kentryINS_6gfx9_tELi2ENS_27FmhaFwdSplitKVCombineKernelINS_34BlockFmhaFwdSplitKVCombinePipelineINS_38BlockFmhaSplitKVCombinePipelineProblemIffDF16bLi256ELb0ELi32ENS_31TileFmhaFwdSplitKVCombineTraitsILb0ELb0ELb1ELb0ELi3ELin1EEEEENS_47BlockFmhaFwdSplitKVCombinePipelineDefaultPolicyEEENS_17Default2DEpilogueINS_24Default2DEpilogueProblemIfDF16bLb0ELb0ELb1EEEvEEEEJNSE_14BatchModeKargsEEEENSt9enable_ifIXnt26kattr_no_packed_fp32_ops_vIT_EEvE4typeEDpT2_
	.globl	_ZN7ck_tile6kentryINS_6gfx9_tELi2ENS_27FmhaFwdSplitKVCombineKernelINS_34BlockFmhaFwdSplitKVCombinePipelineINS_38BlockFmhaSplitKVCombinePipelineProblemIffDF16bLi256ELb0ELi32ENS_31TileFmhaFwdSplitKVCombineTraitsILb0ELb0ELb1ELb0ELi3ELin1EEEEENS_47BlockFmhaFwdSplitKVCombinePipelineDefaultPolicyEEENS_17Default2DEpilogueINS_24Default2DEpilogueProblemIfDF16bLb0ELb0ELb1EEEvEEEEJNSE_14BatchModeKargsEEEENSt9enable_ifIXnt26kattr_no_packed_fp32_ops_vIT_EEvE4typeEDpT2_
	.p2align	8
	.type	_ZN7ck_tile6kentryINS_6gfx9_tELi2ENS_27FmhaFwdSplitKVCombineKernelINS_34BlockFmhaFwdSplitKVCombinePipelineINS_38BlockFmhaSplitKVCombinePipelineProblemIffDF16bLi256ELb0ELi32ENS_31TileFmhaFwdSplitKVCombineTraitsILb0ELb0ELb1ELb0ELi3ELin1EEEEENS_47BlockFmhaFwdSplitKVCombinePipelineDefaultPolicyEEENS_17Default2DEpilogueINS_24Default2DEpilogueProblemIfDF16bLb0ELb0ELb1EEEvEEEEJNSE_14BatchModeKargsEEEENSt9enable_ifIXnt26kattr_no_packed_fp32_ops_vIT_EEvE4typeEDpT2_,@function
_ZN7ck_tile6kentryINS_6gfx9_tELi2ENS_27FmhaFwdSplitKVCombineKernelINS_34BlockFmhaFwdSplitKVCombinePipelineINS_38BlockFmhaSplitKVCombinePipelineProblemIffDF16bLi256ELb0ELi32ENS_31TileFmhaFwdSplitKVCombineTraitsILb0ELb0ELb1ELb0ELi3ELin1EEEEENS_47BlockFmhaFwdSplitKVCombinePipelineDefaultPolicyEEENS_17Default2DEpilogueINS_24Default2DEpilogueProblemIfDF16bLb0ELb0ELb1EEEvEEEEJNSE_14BatchModeKargsEEEENSt9enable_ifIXnt26kattr_no_packed_fp32_ops_vIT_EEvE4typeEDpT2_: ; @_ZN7ck_tile6kentryINS_6gfx9_tELi2ENS_27FmhaFwdSplitKVCombineKernelINS_34BlockFmhaFwdSplitKVCombinePipelineINS_38BlockFmhaSplitKVCombinePipelineProblemIffDF16bLi256ELb0ELi32ENS_31TileFmhaFwdSplitKVCombineTraitsILb0ELb0ELb1ELb0ELi3ELin1EEEEENS_47BlockFmhaFwdSplitKVCombinePipelineDefaultPolicyEEENS_17Default2DEpilogueINS_24Default2DEpilogueProblemIfDF16bLb0ELb0ELb1EEEvEEEEJNSE_14BatchModeKargsEEEENSt9enable_ifIXnt26kattr_no_packed_fp32_ops_vIT_EEvE4typeEDpT2_
; %bb.0:
	s_load_dwordx8 s[8:15], s[0:1], 0x1c
	s_mov_b32 s39, -1
	s_waitcnt lgkmcnt(0)
	s_add_i32 s5, s9, 31
	s_ashr_i32 s6, s5, 31
	s_lshr_b32 s6, s6, 27
	s_add_i32 s5, s5, s6
	s_ashr_i32 s26, s5, 5
	s_abs_i32 s27, s26
	v_cvt_f32_u32_e32 v1, s27
	s_sub_i32 s30, 0, s27
	s_load_dwordx4 s[16:19], s[0:1], 0x0
	s_load_dwordx2 s[6:7], s[0:1], 0x10
	s_load_dwordx2 s[28:29], s[0:1], 0x3c
	s_load_dwordx2 s[24:25], s[0:1], 0x48
	s_load_dword s5, s[0:1], 0x60
	s_load_dwordx4 s[20:23], s[0:1], 0x50
	v_rcp_iflag_f32_e32 v1, v1
	s_abs_i32 s1, s2
	s_xor_b32 s0, s2, s26
	s_ashr_i32 s0, s0, 31
	v_mul_f32_e32 v1, 0x4f7ffffe, v1
	v_cvt_u32_f32_e32 v1, v1
	s_nop 0
	v_readfirstlane_b32 s31, v1
	s_mul_i32 s30, s30, s31
	s_mul_hi_u32 s30, s31, s30
	s_add_i32 s31, s31, s30
	s_mul_hi_u32 s30, s1, s31
	s_mul_i32 s31, s30, s27
	s_sub_i32 s1, s1, s31
	s_add_i32 s31, s30, 1
	s_sub_i32 s33, s1, s27
	s_cmp_ge_u32 s1, s27
	s_cselect_b32 s30, s31, s30
	s_cselect_b32 s1, s33, s1
	s_add_i32 s31, s30, 1
	s_cmp_ge_u32 s1, s27
	s_cselect_b32 s1, s31, s30
	s_xor_b32 s1, s1, s0
	s_sub_i32 s41, s1, s0
	s_add_i32 s43, s10, 3
	s_getpc_b64 s[0:1]
	s_add_u32 s0, s0, _ZN7ck_tile34BlockFmhaFwdSplitKVCombinePipelineINS_38BlockFmhaSplitKVCombinePipelineProblemIffDF16bLi256ELb0ELi32ENS_31TileFmhaFwdSplitKVCombineTraitsILb0ELb0ELb1ELb0ELi3ELin1EEEEENS_47BlockFmhaFwdSplitKVCombinePipelineDefaultPolicyEE3kM0E@rel32@lo+4
	s_addc_u32 s1, s1, _ZN7ck_tile34BlockFmhaFwdSplitKVCombinePipelineINS_38BlockFmhaSplitKVCombinePipelineProblemIffDF16bLi256ELb0ELi32ENS_31TileFmhaFwdSplitKVCombineTraitsILb0ELb0ELb1ELb0ELi3ELin1EEEEENS_47BlockFmhaFwdSplitKVCombinePipelineDefaultPolicyEE3kM0E@rel32@hi+12
	s_load_dword s33, s[0:1], 0x0
	s_ashr_i32 s0, s43, 31
	s_lshr_b32 s0, s0, 30
	s_add_i32 s0, s43, s0
	s_mul_i32 s44, s41, s26
	s_ashr_i32 s42, s0, 2
	s_and_b32 s38, s0, -4
.LBB1_1:                                ; =>This Inner Loop Header: Depth=1
	s_add_i32 s39, s39, 1
	s_lshl_b32 s0, 1, s39
	s_cmp_lt_u32 s0, s38
	s_cbranch_scc1 .LBB1_1
; %bb.2:
	s_mov_b32 s40, -1
.LBB1_3:                                ; =>This Inner Loop Header: Depth=1
	s_add_i32 s40, s40, 1
	s_lshl_b32 s0, 1, s40
	s_waitcnt lgkmcnt(0)
	s_cmp_lt_u32 s0, s33
	s_cbranch_scc1 .LBB1_3
; %bb.4:
	s_lshl_b64 s[0:1], 1, s39
	s_mov_b32 s26, 0
	s_sub_i32 s27, s0, s38
	s_cmp_lg_u64 s[26:27], 0
	s_cbranch_scc0 .LBB1_35
; %bb.5:
	v_cvt_f32_u32_e32 v1, s38
	v_mov_b32_e32 v2, 0x4f800000
	s_sub_u32 s26, 0, s38
	s_subb_u32 s34, 0, 0
	v_fmac_f32_e32 v1, 0, v2
	v_rcp_f32_e32 v1, v1
	s_nop 0
	v_mul_f32_e32 v1, 0x5f7ffffc, v1
	v_mul_f32_e32 v2, 0x2f800000, v1
	v_trunc_f32_e32 v2, v2
	v_fmamk_f32 v1, v2, 0xcf800000, v1
	v_cvt_u32_f32_e32 v2, v2
	v_cvt_u32_f32_e32 v1, v1
	v_readfirstlane_b32 s35, v2
	v_readfirstlane_b32 s30, v1
	s_mul_i32 s31, s26, s35
	s_mul_hi_u32 s37, s26, s30
	s_mul_i32 s36, s34, s30
	s_add_i32 s31, s37, s31
	s_add_i32 s31, s31, s36
	s_mul_i32 s45, s26, s30
	s_mul_i32 s37, s30, s31
	s_mul_hi_u32 s46, s30, s45
	s_mul_hi_u32 s36, s30, s31
	s_add_u32 s37, s46, s37
	s_addc_u32 s36, 0, s36
	s_mul_hi_u32 s47, s35, s45
	s_mul_i32 s45, s35, s45
	s_add_u32 s37, s37, s45
	s_mul_hi_u32 s46, s35, s31
	s_addc_u32 s36, s36, s47
	s_addc_u32 s37, s46, 0
	s_mul_i32 s31, s35, s31
	s_add_u32 s31, s36, s31
	s_addc_u32 s36, 0, s37
	s_add_u32 s37, s30, s31
	s_cselect_b64 s[30:31], -1, 0
	s_cmp_lg_u64 s[30:31], 0
	s_addc_u32 s35, s35, s36
	s_mul_i32 s30, s26, s35
	s_mul_hi_u32 s31, s26, s37
	s_add_i32 s30, s31, s30
	s_mul_i32 s34, s34, s37
	s_add_i32 s30, s30, s34
	s_mul_i32 s26, s26, s37
	s_mul_hi_u32 s34, s35, s26
	s_mul_i32 s36, s35, s26
	s_mul_i32 s46, s37, s30
	s_mul_hi_u32 s26, s37, s26
	s_mul_hi_u32 s45, s37, s30
	s_add_u32 s26, s26, s46
	s_addc_u32 s45, 0, s45
	s_add_u32 s26, s26, s36
	s_mul_hi_u32 s31, s35, s30
	s_addc_u32 s26, s45, s34
	s_addc_u32 s31, s31, 0
	s_mul_i32 s30, s35, s30
	s_add_u32 s26, s26, s30
	s_addc_u32 s34, 0, s31
	s_add_u32 s26, s37, s26
	s_cselect_b64 s[30:31], -1, 0
	s_cmp_lg_u64 s[30:31], 0
	s_addc_u32 s30, s35, s34
	s_mul_i32 s34, s30, 0
	s_mul_hi_u32 s35, 0, s26
	s_mul_hi_u32 s31, 0, s30
	s_add_u32 s34, s35, s34
	s_addc_u32 s31, 0, s31
	s_mul_hi_u32 s36, s27, s26
	s_mul_i32 s26, s27, s26
	s_add_u32 s26, s34, s26
	s_mul_hi_u32 s35, s27, s30
	s_addc_u32 s26, s31, s36
	s_addc_u32 s31, s35, 0
	s_mul_i32 s30, s27, s30
	s_add_u32 s34, s26, s30
	s_addc_u32 s26, 0, s31
	s_mul_i32 s26, s38, s26
	s_mul_hi_u32 s30, s38, s34
	s_add_u32 s35, s34, 1
	s_add_u32 s36, s34, 2
	s_add_i32 s26, s30, s26
	s_mul_i32 s30, s38, s34
	s_sub_u32 s37, 0, s30
	s_cselect_b64 s[30:31], -1, 0
	s_cmp_lg_u64 s[30:31], 0
	s_subb_u32 s30, s27, s26
	s_sub_u32 s31, s37, s38
	s_cselect_b64 s[26:27], -1, 0
	s_cmp_lg_u64 s[26:27], 0
	s_subb_u32 s26, s30, 0
	s_cmp_ge_u32 s31, s38
	s_cselect_b32 s27, -1, 0
	s_cmp_eq_u32 s26, 0
	s_cselect_b32 s26, s27, -1
	s_cmp_lg_u32 s26, 0
	s_cselect_b32 s26, s36, s35
	s_cmp_ge_u32 s37, s38
	s_cselect_b32 s27, -1, 0
	s_cmp_eq_u32 s30, 0
	s_cselect_b32 s27, s27, -1
	s_cmp_lg_u32 s27, 0
	s_cselect_b32 s30, s26, s34
	s_cbranch_execnz .LBB1_7
.LBB1_6:
	v_cvt_f32_u32_e32 v1, s38
	s_sub_i32 s0, 0, s38
	v_rcp_iflag_f32_e32 v1, v1
	s_nop 0
	v_mul_f32_e32 v1, 0x4f7ffffe, v1
	v_cvt_u32_f32_e32 v1, v1
	s_nop 0
	v_readfirstlane_b32 s1, v1
	s_mul_i32 s0, s0, s1
	s_mul_hi_u32 s0, s1, s0
	s_add_i32 s1, s1, s0
	s_mul_hi_u32 s0, 0, s1
	s_mul_i32 s26, s0, s38
	s_sub_i32 s26, 0, s26
	s_add_i32 s1, s0, 1
	s_sub_i32 s27, s26, s38
	s_cmp_ge_u32 s26, s38
	s_cselect_b32 s0, s1, s0
	s_cselect_b32 s26, s27, s26
	s_add_i32 s1, s0, 1
	s_cmp_ge_u32 s26, s38
	s_cselect_b32 s30, s1, s0
.LBB1_7:
	s_lshl_b64 s[0:1], 1, s40
	s_mov_b32 s26, 0
	s_sub_i32 s27, s0, s33
	s_cmp_lg_u64 s[26:27], 0
	s_cbranch_scc0 .LBB1_36
; %bb.8:
	v_cvt_f32_u32_e32 v1, s33
	v_mov_b32_e32 v2, 0x4f800000
	s_sub_u32 s26, 0, s33
	s_subb_u32 s31, 0, 0
	v_fmac_f32_e32 v1, 0, v2
	v_rcp_f32_e32 v1, v1
	s_nop 0
	v_mul_f32_e32 v1, 0x5f7ffffc, v1
	v_mul_f32_e32 v2, 0x2f800000, v1
	v_trunc_f32_e32 v2, v2
	v_fmamk_f32 v1, v2, 0xcf800000, v1
	v_cvt_u32_f32_e32 v2, v2
	v_cvt_u32_f32_e32 v1, v1
	v_readfirstlane_b32 s36, v2
	v_readfirstlane_b32 s34, v1
	s_mul_i32 s35, s26, s36
	s_mul_hi_u32 s45, s26, s34
	s_mul_i32 s37, s31, s34
	s_add_i32 s35, s45, s35
	s_add_i32 s35, s35, s37
	s_mul_i32 s46, s26, s34
	s_mul_i32 s45, s34, s35
	s_mul_hi_u32 s47, s34, s46
	s_mul_hi_u32 s37, s34, s35
	s_add_u32 s45, s47, s45
	s_addc_u32 s37, 0, s37
	s_mul_hi_u32 s48, s36, s46
	s_mul_i32 s46, s36, s46
	s_add_u32 s45, s45, s46
	s_mul_hi_u32 s47, s36, s35
	s_addc_u32 s37, s37, s48
	s_addc_u32 s45, s47, 0
	s_mul_i32 s35, s36, s35
	s_add_u32 s35, s37, s35
	s_addc_u32 s37, 0, s45
	s_add_u32 s45, s34, s35
	s_cselect_b64 s[34:35], -1, 0
	s_cmp_lg_u64 s[34:35], 0
	s_addc_u32 s36, s36, s37
	s_mul_i32 s34, s26, s36
	s_mul_hi_u32 s35, s26, s45
	s_add_i32 s34, s35, s34
	s_mul_i32 s31, s31, s45
	s_add_i32 s34, s34, s31
	s_mul_i32 s26, s26, s45
	s_mul_hi_u32 s35, s36, s26
	s_mul_i32 s37, s36, s26
	s_mul_i32 s47, s45, s34
	s_mul_hi_u32 s26, s45, s26
	s_mul_hi_u32 s46, s45, s34
	s_add_u32 s26, s26, s47
	s_addc_u32 s46, 0, s46
	s_add_u32 s26, s26, s37
	s_mul_hi_u32 s31, s36, s34
	s_addc_u32 s26, s46, s35
	s_addc_u32 s31, s31, 0
	s_mul_i32 s34, s36, s34
	s_add_u32 s26, s26, s34
	s_addc_u32 s31, 0, s31
	s_add_u32 s26, s45, s26
	s_cselect_b64 s[34:35], -1, 0
	s_cmp_lg_u64 s[34:35], 0
	s_addc_u32 s31, s36, s31
	s_mul_i32 s35, s31, 0
	s_mul_hi_u32 s36, 0, s26
	s_mul_hi_u32 s34, 0, s31
	s_add_u32 s35, s36, s35
	s_addc_u32 s34, 0, s34
	s_mul_hi_u32 s37, s27, s26
	s_mul_i32 s26, s27, s26
	s_add_u32 s26, s35, s26
	s_mul_hi_u32 s36, s27, s31
	s_addc_u32 s26, s34, s37
	s_addc_u32 s34, s36, 0
	s_mul_i32 s31, s27, s31
	s_add_u32 s31, s26, s31
	s_addc_u32 s26, 0, s34
	s_mul_i32 s26, s33, s26
	s_mul_hi_u32 s34, s33, s31
	s_add_u32 s36, s31, 1
	s_add_u32 s37, s31, 2
	s_add_i32 s26, s34, s26
	s_mul_i32 s34, s33, s31
	s_sub_u32 s45, 0, s34
	s_cselect_b64 s[34:35], -1, 0
	s_cmp_lg_u64 s[34:35], 0
	s_subb_u32 s34, s27, s26
	s_sub_u32 s35, s45, s33
	s_cselect_b64 s[26:27], -1, 0
	s_cmp_lg_u64 s[26:27], 0
	s_subb_u32 s26, s34, 0
	s_cmp_ge_u32 s35, s33
	s_cselect_b32 s27, -1, 0
	s_cmp_eq_u32 s26, 0
	s_cselect_b32 s26, s27, -1
	s_cmp_lg_u32 s26, 0
	s_cselect_b32 s26, s37, s36
	s_cmp_ge_u32 s45, s33
	s_cselect_b32 s27, -1, 0
	s_cmp_eq_u32 s34, 0
	s_cselect_b32 s27, s27, -1
	s_cmp_lg_u32 s27, 0
	s_cselect_b32 s34, s26, s31
	s_cbranch_execnz .LBB1_10
.LBB1_9:
	v_cvt_f32_u32_e32 v1, s33
	s_sub_i32 s0, 0, s33
	v_rcp_iflag_f32_e32 v1, v1
	s_nop 0
	v_mul_f32_e32 v1, 0x4f7ffffe, v1
	v_cvt_u32_f32_e32 v1, v1
	s_nop 0
	v_readfirstlane_b32 s1, v1
	s_mul_i32 s0, s0, s1
	s_mul_hi_u32 s0, s1, s0
	s_add_i32 s1, s1, s0
	s_mul_hi_u32 s0, 0, s1
	s_mul_i32 s26, s0, s33
	s_sub_i32 s26, 0, s26
	s_add_i32 s1, s0, 1
	s_sub_i32 s27, s26, s33
	s_cmp_ge_u32 s26, s33
	s_cselect_b32 s0, s1, s0
	s_cselect_b32 s26, s27, s26
	s_add_i32 s1, s0, 1
	s_cmp_ge_u32 s26, s33
	s_cselect_b32 s34, s1, s0
.LBB1_10:
	v_mbcnt_lo_u32_b32 v1, -1, 0
	v_mbcnt_hi_u32_b32 v1, -1, v1
	s_lshl_b32 s31, s41, 3
	v_lshrrev_b32_e32 v7, 3, v1
	v_and_b32_e32 v6, 7, v1
	s_add_i32 s35, s10, -1
	v_cmp_gt_i32_e32 vcc, s10, v7
	v_mov_b32_e32 v4, 0
	v_or_b32_e32 v2, s31, v6
	s_and_saveexec_b64 s[0:1], vcc
	s_cbranch_execz .LBB1_12
; %bb.11:
	s_mul_hi_i32 s37, s13, s3
	s_mul_i32 s36, s13, s3
	s_lshl_b64 s[36:37], s[36:37], 2
	s_mul_hi_i32 s27, s22, s4
	s_mul_i32 s26, s22, s4
	s_add_u32 s13, s16, s36
	s_addc_u32 s22, s17, s37
	s_lshl_b64 s[16:17], s[26:27], 2
	s_add_u32 s48, s13, s16
	s_mul_i32 s13, s28, s35
	s_addc_u32 s49, s22, s17
	s_add_i32 s13, s13, s8
	v_mul_lo_u32 v3, v7, s28
	v_add_lshl_u32 v3, v2, v3, 2
	s_lshl_b32 s50, s13, 2
	s_mov_b32 s51, 0x20000
	buffer_load_dword v4, v3, s[48:51], 0 offen
.LBB1_12:
	s_or_b64 exec, exec, s[0:1]
	v_lshlrev_b32_e32 v3, 2, v7
	v_mad_u32_u24 v3, v6, 36, v3
	s_waitcnt vmcnt(0)
	ds_write_b32 v3, v4
	; sched_barrier mask(0x00000000)
	v_mov_b32_e32 v4, 0xff800000
	v_mov_b32_e32 v5, 0xff800000
	s_waitcnt lgkmcnt(0)
	s_barrier
	s_and_saveexec_b64 s[0:1], vcc
; %bb.13:
	ds_read_b32 v5, v3
; %bb.14:
	s_or_b64 exec, exec, s[0:1]
	s_waitcnt lgkmcnt(0)
	v_max_f32_e32 v8, v5, v5
	v_max_f32_e32 v8, 0xff800000, v8
	v_lshlrev_b32_e32 v9, 2, v1
	ds_bpermute_b32 v10, v9, v8 offset:128
	s_mov_b32 s0, 0x3fb8aa3b
	s_mov_b32 s16, 0x42b17218
	;; [unrolled: 1-line block ×3, first 2 shown]
	s_mov_b64 s[26:27], 0
	s_waitcnt lgkmcnt(0)
	v_max_f32_e32 v10, v10, v10
	v_max_f32_e32 v8, v8, v10
	ds_bpermute_b32 v10, v9, v8 offset:64
	s_waitcnt lgkmcnt(0)
	s_barrier
	v_max_f32_e32 v10, v10, v10
	v_max_f32_e32 v8, v8, v10
	ds_bpermute_b32 v10, v9, v8 offset:32
	s_waitcnt lgkmcnt(0)
	v_max_f32_e32 v10, v10, v10
	v_max_f32_e32 v8, v8, v10
	v_sub_f32_e32 v10, v5, v8
	v_mul_f32_e32 v11, 0x3fb8aa3b, v10
	v_fma_f32 v12, v10, s0, -v11
	v_rndne_f32_e32 v13, v11
	v_fmamk_f32 v12, v10, 0x32a5705f, v12
	v_sub_f32_e32 v11, v11, v13
	v_add_f32_e32 v11, v11, v12
	v_cvt_i32_f32_e32 v13, v13
	v_exp_f32_e32 v11, v11
	s_mov_b32 s0, 0xc2ce8ed0
	v_cmp_ngt_f32_e64 s[0:1], s0, v10
	v_mov_b32_e32 v12, 0x7f800000
	v_ldexp_f32 v11, v11, v13
	v_cndmask_b32_e64 v11, 0, v11, s[0:1]
	v_cmp_nlt_f32_e64 s[0:1], s16, v10
	s_nop 1
	v_cndmask_b32_e64 v10, v12, v11, s[0:1]
	v_cmp_neq_f32_e64 s[0:1], s13, v8
	s_nop 1
	v_cndmask_b32_e64 v10, 0, v10, s[0:1]
	ds_bpermute_b32 v11, v9, v10 offset:128
	s_mov_b32 s1, 0x3f317217
	s_mov_b32 s0, 0x7f800000
	s_waitcnt lgkmcnt(0)
	v_add_f32_e32 v10, v10, v11
	ds_bpermute_b32 v11, v9, v10 offset:64
	s_waitcnt lgkmcnt(0)
	v_add_f32_e32 v10, v10, v11
	ds_bpermute_b32 v11, v9, v10 offset:32
	s_waitcnt lgkmcnt(0)
	v_add_f32_e32 v10, v10, v11
	v_log_f32_e32 v11, v10
	s_nop 0
	v_mul_f32_e32 v12, 0x3f317217, v11
	v_fma_f32 v12, v11, s1, -v12
	v_fmamk_f32 v12, v11, 0x3377d1cf, v12
	v_fmac_f32_e32 v12, 0x3f317217, v11
	v_cmp_lt_f32_e64 s[0:1], |v11|, s0
	s_nop 1
	v_cndmask_b32_e64 v11, v11, v12, s[0:1]
	v_add_f32_e32 v8, v8, v11
	v_cmp_neq_f32_e64 s[0:1], 0, v10
	s_nop 1
	v_cndmask_b32_e64 v4, v4, v8, s[0:1]
	v_cmp_neq_f32_e64 s[0:1], s13, v4
                                        ; implicit-def: $vgpr8
	s_and_saveexec_b64 s[16:17], s[0:1]
	s_xor_b64 s[16:17], exec, s[16:17]
	s_cbranch_execnz .LBB1_31
; %bb.15:
	s_andn2_saveexec_b64 s[0:1], s[16:17]
	s_cbranch_execnz .LBB1_34
.LBB1_16:
	s_or_b64 exec, exec, s[0:1]
	s_and_saveexec_b64 s[0:1], s[26:27]
.LBB1_17:
	ds_write_b32 v3, v8
.LBB1_18:
	s_or_b64 exec, exec, s[0:1]
	s_mul_hi_i32 s17, s20, s3
	s_mul_i32 s16, s20, s3
	s_lshl_b64 s[16:17], s[16:17], 2
	s_mul_hi_i32 s1, s21, s4
	s_mul_i32 s0, s21, s4
	s_add_u32 s13, s24, s16
	s_addc_u32 s16, s25, s17
	s_lshl_b64 s[0:1], s[0:1], 2
	s_add_u32 s24, s13, s0
	s_addc_u32 s25, s16, s1
	s_sub_i32 s0, s2, s44
	s_add_i32 s13, s8, -1
	s_lshl_b32 s2, s0, 5
	s_lshl_b32 s26, s8, 2
	s_mov_b32 s27, 0x20000
	v_lshlrev_b32_e32 v2, 2, v2
	s_mov_b32 s8, 0
	v_readfirstlane_b32 s0, v0
	buffer_store_dword v4, v2, s[24:27], 0 offen
	; sched_barrier mask(0x00000000)
	v_mov_b32_e32 v5, 0
	s_cmp_lt_i32 s43, 4
	v_mov_b32_e32 v4, v5
	v_mov_b32_e32 v3, v5
	v_mov_b32_e32 v2, v5
	s_waitcnt lgkmcnt(0)
	s_barrier
	s_cbranch_scc1 .LBB1_30
; %bb.19:
	s_mul_i32 s21, s11, s13
	s_mul_i32 s20, s29, s35
	s_add_i32 s21, s21, s9
	s_mul_i32 s42, s42, s41
	s_add_i32 s26, s21, s20
	s_mul_hi_i32 s21, s23, s4
	s_mul_i32 s20, s23, s4
	s_mul_hi_i32 s23, s14, s3
	s_mul_i32 s22, s14, s3
	s_add_i32 s16, s34, 1
	s_add_i32 s17, s30, 1
	s_lshl_b32 s1, s42, 5
	s_lshl_b64 s[22:23], s[22:23], 2
	s_add_u32 s14, s18, s22
	s_addc_u32 s22, s19, s23
	s_lshl_b64 s[18:19], s[20:21], 2
	s_add_u32 s24, s14, s18
	s_addc_u32 s25, s22, s19
	s_lshr_b32 s0, s0, 3
	s_and_b32 s0, s0, 0x1ffffff8
	s_add_i32 s0, s0, s1
	v_add_u32_e32 v14, s0, v7
	v_mul_hi_u32 v2, s16, v14
	v_add_u32_e32 v2, v14, v2
	v_lshrrev_b32_e32 v2, s40, v2
	v_mul_hi_u32 v3, s17, v2
	v_add_u32_e32 v3, v2, v3
	v_lshrrev_b32_e32 v17, s39, v3
	v_mul_lo_u32 v3, v17, s38
	v_sub_u32_e32 v19, v2, v3
	v_mul_lo_u32 v2, v2, s33
	v_sub_u32_e32 v8, v14, v2
	v_mad_u64_u32 v[2:3], s[0:1], v17, s33, v[8:9]
	v_lshl_or_b32 v4, v6, 2, s2
	v_mul_lo_u32 v5, v19, s29
	v_mul_lo_u32 v2, v2, s11
	v_add3_u32 v15, v4, v5, v2
	v_mov_b32_e32 v2, 0
	s_lshl_b32 s26, s26, 2
	v_mul_u32_u24_e32 v16, 36, v7
	v_add_u32_e32 v6, 32, v14
	s_sub_i32 s14, 0, s33
	v_mov_b32_e32 v18, v19
	v_mov_b32_e32 v3, v2
	;; [unrolled: 1-line block ×4, first 2 shown]
.LBB1_20:                               ; =>This Inner Loop Header: Depth=1
	v_cmp_gt_i32_e32 vcc, s10, v18
	v_lshlrev_b32_e32 v20, 2, v15
	v_mov_b32_e32 v10, 0
	s_and_saveexec_b64 s[0:1], vcc
	s_cbranch_execz .LBB1_22
; %bb.21:                               ;   in Loop: Header=BB1_20 Depth=1
	buffer_load_dword v10, v20, s[24:27], 0 offen
.LBB1_22:                               ;   in Loop: Header=BB1_20 Depth=1
	s_or_b64 exec, exec, s[0:1]
	v_mov_b32_e32 v12, 0
	v_mov_b32_e32 v11, 0
	s_and_saveexec_b64 s[0:1], vcc
	s_cbranch_execnz .LBB1_28
; %bb.23:                               ;   in Loop: Header=BB1_20 Depth=1
	s_or_b64 exec, exec, s[0:1]
	s_and_saveexec_b64 s[0:1], vcc
	s_cbranch_execnz .LBB1_29
.LBB1_24:                               ;   in Loop: Header=BB1_20 Depth=1
	s_or_b64 exec, exec, s[0:1]
	v_mov_b32_e32 v13, 0
	s_and_saveexec_b64 s[0:1], vcc
	s_cbranch_execz .LBB1_26
.LBB1_25:                               ;   in Loop: Header=BB1_20 Depth=1
	buffer_load_dword v13, v20, s[24:27], 0 offen offset:12
.LBB1_26:                               ;   in Loop: Header=BB1_20 Depth=1
	s_or_b64 exec, exec, s[0:1]
	v_readfirstlane_b32 s0, v0
	s_lshr_b32 s0, s0, 4
	s_and_b32 s0, s0, 0xffffffc
	v_add_u32_e32 v20, s0, v16
	ds_read_b32 v20, v20
	v_add_u32_e32 v14, 32, v14
	v_mul_hi_u32 v21, s16, v6
	v_add_u32_e32 v21, v14, v21
	s_add_i32 s8, s8, 4
	s_waitcnt vmcnt(0) lgkmcnt(0)
	v_pk_fma_f32 v[4:5], v[12:13], v[20:21], v[4:5] op_sel_hi:[1,0,1]
	v_lshrrev_b32_e32 v13, s40, v21
	v_pk_fma_f32 v[2:3], v[10:11], v[20:21], v[2:3] op_sel_hi:[1,0,1]
	v_mad_u64_u32 v[10:11], s[0:1], s14, v13, v[6:7]
	v_mul_hi_u32 v11, s17, v13
	v_add_u32_e32 v11, v13, v11
	v_lshrrev_b32_e32 v11, s39, v11
	v_mul_lo_u32 v12, v11, s38
	v_sub_u32_e32 v17, v11, v17
	v_sub_u32_e32 v12, v13, v12
	;; [unrolled: 1-line block ×3, first 2 shown]
	v_mul_lo_u32 v13, s33, v13
	v_sub_u32_e32 v8, v13, v8
	v_sub_u32_e32 v19, v12, v19
	v_add_u32_e32 v8, v6, v8
	v_mul_lo_u32 v13, v19, s29
	v_mul_lo_u32 v8, v8, s11
	v_add_u32_e32 v18, v19, v18
	v_add3_u32 v15, v13, v15, v8
	v_add_u32_e32 v16, 16, v16
	s_cmp_lt_i32 s8, s38
	v_add_u32_e32 v6, 32, v6
	s_cbranch_scc0 .LBB1_30
; %bb.27:                               ;   in Loop: Header=BB1_20 Depth=1
	v_mov_b32_e32 v8, v10
	v_mov_b32_e32 v17, v11
	;; [unrolled: 1-line block ×3, first 2 shown]
	s_branch .LBB1_20
.LBB1_28:                               ;   in Loop: Header=BB1_20 Depth=1
	buffer_load_dword v11, v20, s[24:27], 0 offen offset:4
	s_or_b64 exec, exec, s[0:1]
	s_and_saveexec_b64 s[0:1], vcc
	s_cbranch_execz .LBB1_24
.LBB1_29:                               ;   in Loop: Header=BB1_20 Depth=1
	buffer_load_dword v12, v20, s[24:27], 0 offen offset:8
	s_or_b64 exec, exec, s[0:1]
	v_mov_b32_e32 v13, 0
	s_and_saveexec_b64 s[0:1], vcc
	s_cbranch_execnz .LBB1_25
	s_branch .LBB1_26
.LBB1_30:
	v_readfirstlane_b32 s0, v0
	s_lshr_b32 s1, s0, 3
	s_and_b32 s1, s1, 0xffffff8
	v_and_b32_e32 v0, 28, v9
	v_add_lshl_u32 v6, s1, v7, 4
	s_movk_i32 s1, 0x84
	v_mad_u32_u24 v0, v0, s1, v6
	ds_write_b128 v0, v[2:5] offset:284
	; sched_barrier mask(0x00000000)
	s_lshr_b32 s0, s0, 5
	s_and_b32 s0, s0, 0x7fffffe
	v_lshrrev_b32_e32 v0, 5, v1
	v_bfe_u32 v2, v1, 2, 3
	v_add_u32_e32 v0, s0, v0
	v_mul_u32_u24_e32 v2, 0x210, v2
	v_lshl_add_u32 v2, v0, 4, v2
	v_and_b32_e32 v3, 3, v1
	v_lshl_or_b32 v4, v3, 2, v2
	s_waitcnt lgkmcnt(0)
	s_barrier
	ds_read2_b32 v[2:3], v4 offset0:135 offset1:167
	ds_read2_b32 v[4:5], v4 offset0:71 offset1:103
	s_mul_i32 s0, s12, s13
	s_add_i32 s8, s0, s9
	s_mul_hi_i32 s1, s15, s3
	s_mul_i32 s0, s15, s3
	s_lshl_b64 s[0:1], s[0:1], 1
	s_add_u32 s3, s6, s0
	s_waitcnt lgkmcnt(0)
	v_add_f32_e32 v4, 0, v4
	s_addc_u32 s6, s7, s1
	s_mul_hi_i32 s1, s5, s4
	s_mul_i32 s0, s5, s4
	v_add_f32_e32 v4, v5, v4
	s_lshl_b64 s[0:1], s[0:1], 1
	v_add_f32_e32 v2, v2, v4
	v_add_u32_e32 v0, s31, v0
	s_add_u32 s0, s3, s0
	v_add_f32_e32 v2, v3, v2
	v_and_or_b32 v1, v1, 31, s2
	v_mul_lo_u32 v0, v0, s12
	s_addc_u32 s1, s6, s1
	v_cvt_pk_bf16_f32 v2, v2, s0
	s_lshl_b32 s2, s8, 1
	s_mov_b32 s3, 0x20000
	v_add_lshl_u32 v0, v1, v0, 1
	buffer_store_short v2, v0, s[0:3], 0 offen
	s_endpgm
.LBB1_31:
                                        ; implicit-def: $vgpr8
	s_and_saveexec_b64 s[0:1], vcc
	s_xor_b64 s[36:37], exec, s[0:1]
	s_cbranch_execz .LBB1_33
; %bb.32:
	v_sub_f32_e32 v5, v5, v4
	s_mov_b32 s0, 0x3fb8aa3b
	v_mul_f32_e32 v8, 0x3fb8aa3b, v5
	v_fma_f32 v10, v5, s0, -v8
	v_rndne_f32_e32 v11, v8
	v_fmamk_f32 v10, v5, 0x32a5705f, v10
	v_sub_f32_e32 v8, v8, v11
	v_add_f32_e32 v8, v8, v10
	v_exp_f32_e32 v8, v8
	v_cvt_i32_f32_e32 v10, v11
	s_mov_b32 s0, 0xc2ce8ed0
	v_cmp_ngt_f32_e64 s[0:1], s0, v5
	s_mov_b64 s[26:27], exec
	v_ldexp_f32 v8, v8, v10
	v_cndmask_b32_e64 v8, 0, v8, s[0:1]
	s_mov_b32 s0, 0x42b17218
	v_mov_b32_e32 v10, 0x7f800000
	v_cmp_nlt_f32_e64 s[0:1], s0, v5
	s_nop 1
	v_cndmask_b32_e64 v8, v10, v8, s[0:1]
.LBB1_33:
	s_or_b64 exec, exec, s[36:37]
	s_and_b64 s[26:27], s[26:27], exec
	s_andn2_saveexec_b64 s[0:1], s[16:17]
	s_cbranch_execz .LBB1_16
.LBB1_34:
	s_andn2_b64 s[16:17], s[26:27], exec
	s_and_b64 s[26:27], vcc, exec
	v_mov_b32_e32 v8, 0
	s_or_b64 s[26:27], s[16:17], s[26:27]
	s_or_b64 exec, exec, s[0:1]
	s_and_saveexec_b64 s[0:1], s[26:27]
	s_cbranch_execnz .LBB1_17
	s_branch .LBB1_18
.LBB1_35:
                                        ; implicit-def: $sgpr30_sgpr31
	s_branch .LBB1_6
.LBB1_36:
                                        ; implicit-def: $sgpr34_sgpr35
	s_branch .LBB1_9
	.section	.rodata,"a",@progbits
	.p2align	6, 0x0
	.amdhsa_kernel _ZN7ck_tile6kentryINS_6gfx9_tELi2ENS_27FmhaFwdSplitKVCombineKernelINS_34BlockFmhaFwdSplitKVCombinePipelineINS_38BlockFmhaSplitKVCombinePipelineProblemIffDF16bLi256ELb0ELi32ENS_31TileFmhaFwdSplitKVCombineTraitsILb0ELb0ELb1ELb0ELi3ELin1EEEEENS_47BlockFmhaFwdSplitKVCombinePipelineDefaultPolicyEEENS_17Default2DEpilogueINS_24Default2DEpilogueProblemIfDF16bLb0ELb0ELb1EEEvEEEEJNSE_14BatchModeKargsEEEENSt9enable_ifIXnt26kattr_no_packed_fp32_ops_vIT_EEvE4typeEDpT2_
		.amdhsa_group_segment_fixed_size 4492
		.amdhsa_private_segment_fixed_size 0
		.amdhsa_kernarg_size 104
		.amdhsa_user_sgpr_count 2
		.amdhsa_user_sgpr_dispatch_ptr 0
		.amdhsa_user_sgpr_queue_ptr 0
		.amdhsa_user_sgpr_kernarg_segment_ptr 1
		.amdhsa_user_sgpr_dispatch_id 0
		.amdhsa_user_sgpr_kernarg_preload_length 0
		.amdhsa_user_sgpr_kernarg_preload_offset 0
		.amdhsa_user_sgpr_private_segment_size 0
		.amdhsa_uses_dynamic_stack 0
		.amdhsa_enable_private_segment 0
		.amdhsa_system_sgpr_workgroup_id_x 1
		.amdhsa_system_sgpr_workgroup_id_y 1
		.amdhsa_system_sgpr_workgroup_id_z 1
		.amdhsa_system_sgpr_workgroup_info 0
		.amdhsa_system_vgpr_workitem_id 0
		.amdhsa_next_free_vgpr 22
		.amdhsa_next_free_sgpr 52
		.amdhsa_accum_offset 24
		.amdhsa_reserve_vcc 1
		.amdhsa_float_round_mode_32 0
		.amdhsa_float_round_mode_16_64 0
		.amdhsa_float_denorm_mode_32 0
		.amdhsa_float_denorm_mode_16_64 3
		.amdhsa_dx10_clamp 1
		.amdhsa_ieee_mode 1
		.amdhsa_fp16_overflow 0
		.amdhsa_tg_split 0
		.amdhsa_exception_fp_ieee_invalid_op 0
		.amdhsa_exception_fp_denorm_src 0
		.amdhsa_exception_fp_ieee_div_zero 0
		.amdhsa_exception_fp_ieee_overflow 0
		.amdhsa_exception_fp_ieee_underflow 0
		.amdhsa_exception_fp_ieee_inexact 0
		.amdhsa_exception_int_div_zero 0
	.end_amdhsa_kernel
	.section	.text._ZN7ck_tile6kentryINS_6gfx9_tELi2ENS_27FmhaFwdSplitKVCombineKernelINS_34BlockFmhaFwdSplitKVCombinePipelineINS_38BlockFmhaSplitKVCombinePipelineProblemIffDF16bLi256ELb0ELi32ENS_31TileFmhaFwdSplitKVCombineTraitsILb0ELb0ELb1ELb0ELi3ELin1EEEEENS_47BlockFmhaFwdSplitKVCombinePipelineDefaultPolicyEEENS_17Default2DEpilogueINS_24Default2DEpilogueProblemIfDF16bLb0ELb0ELb1EEEvEEEEJNSE_14BatchModeKargsEEEENSt9enable_ifIXnt26kattr_no_packed_fp32_ops_vIT_EEvE4typeEDpT2_,"axG",@progbits,_ZN7ck_tile6kentryINS_6gfx9_tELi2ENS_27FmhaFwdSplitKVCombineKernelINS_34BlockFmhaFwdSplitKVCombinePipelineINS_38BlockFmhaSplitKVCombinePipelineProblemIffDF16bLi256ELb0ELi32ENS_31TileFmhaFwdSplitKVCombineTraitsILb0ELb0ELb1ELb0ELi3ELin1EEEEENS_47BlockFmhaFwdSplitKVCombinePipelineDefaultPolicyEEENS_17Default2DEpilogueINS_24Default2DEpilogueProblemIfDF16bLb0ELb0ELb1EEEvEEEEJNSE_14BatchModeKargsEEEENSt9enable_ifIXnt26kattr_no_packed_fp32_ops_vIT_EEvE4typeEDpT2_,comdat
.Lfunc_end1:
	.size	_ZN7ck_tile6kentryINS_6gfx9_tELi2ENS_27FmhaFwdSplitKVCombineKernelINS_34BlockFmhaFwdSplitKVCombinePipelineINS_38BlockFmhaSplitKVCombinePipelineProblemIffDF16bLi256ELb0ELi32ENS_31TileFmhaFwdSplitKVCombineTraitsILb0ELb0ELb1ELb0ELi3ELin1EEEEENS_47BlockFmhaFwdSplitKVCombinePipelineDefaultPolicyEEENS_17Default2DEpilogueINS_24Default2DEpilogueProblemIfDF16bLb0ELb0ELb1EEEvEEEEJNSE_14BatchModeKargsEEEENSt9enable_ifIXnt26kattr_no_packed_fp32_ops_vIT_EEvE4typeEDpT2_, .Lfunc_end1-_ZN7ck_tile6kentryINS_6gfx9_tELi2ENS_27FmhaFwdSplitKVCombineKernelINS_34BlockFmhaFwdSplitKVCombinePipelineINS_38BlockFmhaSplitKVCombinePipelineProblemIffDF16bLi256ELb0ELi32ENS_31TileFmhaFwdSplitKVCombineTraitsILb0ELb0ELb1ELb0ELi3ELin1EEEEENS_47BlockFmhaFwdSplitKVCombinePipelineDefaultPolicyEEENS_17Default2DEpilogueINS_24Default2DEpilogueProblemIfDF16bLb0ELb0ELb1EEEvEEEEJNSE_14BatchModeKargsEEEENSt9enable_ifIXnt26kattr_no_packed_fp32_ops_vIT_EEvE4typeEDpT2_
                                        ; -- End function
	.set _ZN7ck_tile6kentryINS_6gfx9_tELi2ENS_27FmhaFwdSplitKVCombineKernelINS_34BlockFmhaFwdSplitKVCombinePipelineINS_38BlockFmhaSplitKVCombinePipelineProblemIffDF16bLi256ELb0ELi32ENS_31TileFmhaFwdSplitKVCombineTraitsILb0ELb0ELb1ELb0ELi3ELin1EEEEENS_47BlockFmhaFwdSplitKVCombinePipelineDefaultPolicyEEENS_17Default2DEpilogueINS_24Default2DEpilogueProblemIfDF16bLb0ELb0ELb1EEEvEEEEJNSE_14BatchModeKargsEEEENSt9enable_ifIXnt26kattr_no_packed_fp32_ops_vIT_EEvE4typeEDpT2_.num_vgpr, 22
	.set _ZN7ck_tile6kentryINS_6gfx9_tELi2ENS_27FmhaFwdSplitKVCombineKernelINS_34BlockFmhaFwdSplitKVCombinePipelineINS_38BlockFmhaSplitKVCombinePipelineProblemIffDF16bLi256ELb0ELi32ENS_31TileFmhaFwdSplitKVCombineTraitsILb0ELb0ELb1ELb0ELi3ELin1EEEEENS_47BlockFmhaFwdSplitKVCombinePipelineDefaultPolicyEEENS_17Default2DEpilogueINS_24Default2DEpilogueProblemIfDF16bLb0ELb0ELb1EEEvEEEEJNSE_14BatchModeKargsEEEENSt9enable_ifIXnt26kattr_no_packed_fp32_ops_vIT_EEvE4typeEDpT2_.num_agpr, 0
	.set _ZN7ck_tile6kentryINS_6gfx9_tELi2ENS_27FmhaFwdSplitKVCombineKernelINS_34BlockFmhaFwdSplitKVCombinePipelineINS_38BlockFmhaSplitKVCombinePipelineProblemIffDF16bLi256ELb0ELi32ENS_31TileFmhaFwdSplitKVCombineTraitsILb0ELb0ELb1ELb0ELi3ELin1EEEEENS_47BlockFmhaFwdSplitKVCombinePipelineDefaultPolicyEEENS_17Default2DEpilogueINS_24Default2DEpilogueProblemIfDF16bLb0ELb0ELb1EEEvEEEEJNSE_14BatchModeKargsEEEENSt9enable_ifIXnt26kattr_no_packed_fp32_ops_vIT_EEvE4typeEDpT2_.numbered_sgpr, 52
	.set _ZN7ck_tile6kentryINS_6gfx9_tELi2ENS_27FmhaFwdSplitKVCombineKernelINS_34BlockFmhaFwdSplitKVCombinePipelineINS_38BlockFmhaSplitKVCombinePipelineProblemIffDF16bLi256ELb0ELi32ENS_31TileFmhaFwdSplitKVCombineTraitsILb0ELb0ELb1ELb0ELi3ELin1EEEEENS_47BlockFmhaFwdSplitKVCombinePipelineDefaultPolicyEEENS_17Default2DEpilogueINS_24Default2DEpilogueProblemIfDF16bLb0ELb0ELb1EEEvEEEEJNSE_14BatchModeKargsEEEENSt9enable_ifIXnt26kattr_no_packed_fp32_ops_vIT_EEvE4typeEDpT2_.num_named_barrier, 0
	.set _ZN7ck_tile6kentryINS_6gfx9_tELi2ENS_27FmhaFwdSplitKVCombineKernelINS_34BlockFmhaFwdSplitKVCombinePipelineINS_38BlockFmhaSplitKVCombinePipelineProblemIffDF16bLi256ELb0ELi32ENS_31TileFmhaFwdSplitKVCombineTraitsILb0ELb0ELb1ELb0ELi3ELin1EEEEENS_47BlockFmhaFwdSplitKVCombinePipelineDefaultPolicyEEENS_17Default2DEpilogueINS_24Default2DEpilogueProblemIfDF16bLb0ELb0ELb1EEEvEEEEJNSE_14BatchModeKargsEEEENSt9enable_ifIXnt26kattr_no_packed_fp32_ops_vIT_EEvE4typeEDpT2_.private_seg_size, 0
	.set _ZN7ck_tile6kentryINS_6gfx9_tELi2ENS_27FmhaFwdSplitKVCombineKernelINS_34BlockFmhaFwdSplitKVCombinePipelineINS_38BlockFmhaSplitKVCombinePipelineProblemIffDF16bLi256ELb0ELi32ENS_31TileFmhaFwdSplitKVCombineTraitsILb0ELb0ELb1ELb0ELi3ELin1EEEEENS_47BlockFmhaFwdSplitKVCombinePipelineDefaultPolicyEEENS_17Default2DEpilogueINS_24Default2DEpilogueProblemIfDF16bLb0ELb0ELb1EEEvEEEEJNSE_14BatchModeKargsEEEENSt9enable_ifIXnt26kattr_no_packed_fp32_ops_vIT_EEvE4typeEDpT2_.uses_vcc, 1
	.set _ZN7ck_tile6kentryINS_6gfx9_tELi2ENS_27FmhaFwdSplitKVCombineKernelINS_34BlockFmhaFwdSplitKVCombinePipelineINS_38BlockFmhaSplitKVCombinePipelineProblemIffDF16bLi256ELb0ELi32ENS_31TileFmhaFwdSplitKVCombineTraitsILb0ELb0ELb1ELb0ELi3ELin1EEEEENS_47BlockFmhaFwdSplitKVCombinePipelineDefaultPolicyEEENS_17Default2DEpilogueINS_24Default2DEpilogueProblemIfDF16bLb0ELb0ELb1EEEvEEEEJNSE_14BatchModeKargsEEEENSt9enable_ifIXnt26kattr_no_packed_fp32_ops_vIT_EEvE4typeEDpT2_.uses_flat_scratch, 0
	.set _ZN7ck_tile6kentryINS_6gfx9_tELi2ENS_27FmhaFwdSplitKVCombineKernelINS_34BlockFmhaFwdSplitKVCombinePipelineINS_38BlockFmhaSplitKVCombinePipelineProblemIffDF16bLi256ELb0ELi32ENS_31TileFmhaFwdSplitKVCombineTraitsILb0ELb0ELb1ELb0ELi3ELin1EEEEENS_47BlockFmhaFwdSplitKVCombinePipelineDefaultPolicyEEENS_17Default2DEpilogueINS_24Default2DEpilogueProblemIfDF16bLb0ELb0ELb1EEEvEEEEJNSE_14BatchModeKargsEEEENSt9enable_ifIXnt26kattr_no_packed_fp32_ops_vIT_EEvE4typeEDpT2_.has_dyn_sized_stack, 0
	.set _ZN7ck_tile6kentryINS_6gfx9_tELi2ENS_27FmhaFwdSplitKVCombineKernelINS_34BlockFmhaFwdSplitKVCombinePipelineINS_38BlockFmhaSplitKVCombinePipelineProblemIffDF16bLi256ELb0ELi32ENS_31TileFmhaFwdSplitKVCombineTraitsILb0ELb0ELb1ELb0ELi3ELin1EEEEENS_47BlockFmhaFwdSplitKVCombinePipelineDefaultPolicyEEENS_17Default2DEpilogueINS_24Default2DEpilogueProblemIfDF16bLb0ELb0ELb1EEEvEEEEJNSE_14BatchModeKargsEEEENSt9enable_ifIXnt26kattr_no_packed_fp32_ops_vIT_EEvE4typeEDpT2_.has_recursion, 0
	.set _ZN7ck_tile6kentryINS_6gfx9_tELi2ENS_27FmhaFwdSplitKVCombineKernelINS_34BlockFmhaFwdSplitKVCombinePipelineINS_38BlockFmhaSplitKVCombinePipelineProblemIffDF16bLi256ELb0ELi32ENS_31TileFmhaFwdSplitKVCombineTraitsILb0ELb0ELb1ELb0ELi3ELin1EEEEENS_47BlockFmhaFwdSplitKVCombinePipelineDefaultPolicyEEENS_17Default2DEpilogueINS_24Default2DEpilogueProblemIfDF16bLb0ELb0ELb1EEEvEEEEJNSE_14BatchModeKargsEEEENSt9enable_ifIXnt26kattr_no_packed_fp32_ops_vIT_EEvE4typeEDpT2_.has_indirect_call, 0
	.section	.AMDGPU.csdata,"",@progbits
; Kernel info:
; codeLenInByte = 3144
; TotalNumSgprs: 58
; NumVgprs: 22
; NumAgprs: 0
; TotalNumVgprs: 22
; ScratchSize: 0
; MemoryBound: 0
; FloatMode: 192
; IeeeMode: 1
; LDSByteSize: 4492 bytes/workgroup (compile time only)
; SGPRBlocks: 7
; VGPRBlocks: 2
; NumSGPRsForWavesPerEU: 58
; NumVGPRsForWavesPerEU: 22
; AccumOffset: 24
; Occupancy: 8
; WaveLimiterHint : 0
; COMPUTE_PGM_RSRC2:SCRATCH_EN: 0
; COMPUTE_PGM_RSRC2:USER_SGPR: 2
; COMPUTE_PGM_RSRC2:TRAP_HANDLER: 0
; COMPUTE_PGM_RSRC2:TGID_X_EN: 1
; COMPUTE_PGM_RSRC2:TGID_Y_EN: 1
; COMPUTE_PGM_RSRC2:TGID_Z_EN: 1
; COMPUTE_PGM_RSRC2:TIDIG_COMP_CNT: 0
; COMPUTE_PGM_RSRC3_GFX90A:ACCUM_OFFSET: 5
; COMPUTE_PGM_RSRC3_GFX90A:TG_SPLIT: 0
	.section	.text._ZN7ck_tile6kentryINS_6gfx9_tELi2ENS_27FmhaFwdSplitKVCombineKernelINS_34BlockFmhaFwdSplitKVCombinePipelineINS_38BlockFmhaSplitKVCombinePipelineProblemIffDF16bLi256ELb0ELi32ENS_31TileFmhaFwdSplitKVCombineTraitsILb0ELb0ELb1ELb0ELi4ELin1EEEEENS_47BlockFmhaFwdSplitKVCombinePipelineDefaultPolicyEEENS_17Default2DEpilogueINS_24Default2DEpilogueProblemIfDF16bLb0ELb0ELb1EEEvEEEEJNSE_14BatchModeKargsEEEENSt9enable_ifIXnt26kattr_no_packed_fp32_ops_vIT_EEvE4typeEDpT2_,"axG",@progbits,_ZN7ck_tile6kentryINS_6gfx9_tELi2ENS_27FmhaFwdSplitKVCombineKernelINS_34BlockFmhaFwdSplitKVCombinePipelineINS_38BlockFmhaSplitKVCombinePipelineProblemIffDF16bLi256ELb0ELi32ENS_31TileFmhaFwdSplitKVCombineTraitsILb0ELb0ELb1ELb0ELi4ELin1EEEEENS_47BlockFmhaFwdSplitKVCombinePipelineDefaultPolicyEEENS_17Default2DEpilogueINS_24Default2DEpilogueProblemIfDF16bLb0ELb0ELb1EEEvEEEEJNSE_14BatchModeKargsEEEENSt9enable_ifIXnt26kattr_no_packed_fp32_ops_vIT_EEvE4typeEDpT2_,comdat
	.protected	_ZN7ck_tile6kentryINS_6gfx9_tELi2ENS_27FmhaFwdSplitKVCombineKernelINS_34BlockFmhaFwdSplitKVCombinePipelineINS_38BlockFmhaSplitKVCombinePipelineProblemIffDF16bLi256ELb0ELi32ENS_31TileFmhaFwdSplitKVCombineTraitsILb0ELb0ELb1ELb0ELi4ELin1EEEEENS_47BlockFmhaFwdSplitKVCombinePipelineDefaultPolicyEEENS_17Default2DEpilogueINS_24Default2DEpilogueProblemIfDF16bLb0ELb0ELb1EEEvEEEEJNSE_14BatchModeKargsEEEENSt9enable_ifIXnt26kattr_no_packed_fp32_ops_vIT_EEvE4typeEDpT2_ ; -- Begin function _ZN7ck_tile6kentryINS_6gfx9_tELi2ENS_27FmhaFwdSplitKVCombineKernelINS_34BlockFmhaFwdSplitKVCombinePipelineINS_38BlockFmhaSplitKVCombinePipelineProblemIffDF16bLi256ELb0ELi32ENS_31TileFmhaFwdSplitKVCombineTraitsILb0ELb0ELb1ELb0ELi4ELin1EEEEENS_47BlockFmhaFwdSplitKVCombinePipelineDefaultPolicyEEENS_17Default2DEpilogueINS_24Default2DEpilogueProblemIfDF16bLb0ELb0ELb1EEEvEEEEJNSE_14BatchModeKargsEEEENSt9enable_ifIXnt26kattr_no_packed_fp32_ops_vIT_EEvE4typeEDpT2_
	.globl	_ZN7ck_tile6kentryINS_6gfx9_tELi2ENS_27FmhaFwdSplitKVCombineKernelINS_34BlockFmhaFwdSplitKVCombinePipelineINS_38BlockFmhaSplitKVCombinePipelineProblemIffDF16bLi256ELb0ELi32ENS_31TileFmhaFwdSplitKVCombineTraitsILb0ELb0ELb1ELb0ELi4ELin1EEEEENS_47BlockFmhaFwdSplitKVCombinePipelineDefaultPolicyEEENS_17Default2DEpilogueINS_24Default2DEpilogueProblemIfDF16bLb0ELb0ELb1EEEvEEEEJNSE_14BatchModeKargsEEEENSt9enable_ifIXnt26kattr_no_packed_fp32_ops_vIT_EEvE4typeEDpT2_
	.p2align	8
	.type	_ZN7ck_tile6kentryINS_6gfx9_tELi2ENS_27FmhaFwdSplitKVCombineKernelINS_34BlockFmhaFwdSplitKVCombinePipelineINS_38BlockFmhaSplitKVCombinePipelineProblemIffDF16bLi256ELb0ELi32ENS_31TileFmhaFwdSplitKVCombineTraitsILb0ELb0ELb1ELb0ELi4ELin1EEEEENS_47BlockFmhaFwdSplitKVCombinePipelineDefaultPolicyEEENS_17Default2DEpilogueINS_24Default2DEpilogueProblemIfDF16bLb0ELb0ELb1EEEvEEEEJNSE_14BatchModeKargsEEEENSt9enable_ifIXnt26kattr_no_packed_fp32_ops_vIT_EEvE4typeEDpT2_,@function
_ZN7ck_tile6kentryINS_6gfx9_tELi2ENS_27FmhaFwdSplitKVCombineKernelINS_34BlockFmhaFwdSplitKVCombinePipelineINS_38BlockFmhaSplitKVCombinePipelineProblemIffDF16bLi256ELb0ELi32ENS_31TileFmhaFwdSplitKVCombineTraitsILb0ELb0ELb1ELb0ELi4ELin1EEEEENS_47BlockFmhaFwdSplitKVCombinePipelineDefaultPolicyEEENS_17Default2DEpilogueINS_24Default2DEpilogueProblemIfDF16bLb0ELb0ELb1EEEvEEEEJNSE_14BatchModeKargsEEEENSt9enable_ifIXnt26kattr_no_packed_fp32_ops_vIT_EEvE4typeEDpT2_: ; @_ZN7ck_tile6kentryINS_6gfx9_tELi2ENS_27FmhaFwdSplitKVCombineKernelINS_34BlockFmhaFwdSplitKVCombinePipelineINS_38BlockFmhaSplitKVCombinePipelineProblemIffDF16bLi256ELb0ELi32ENS_31TileFmhaFwdSplitKVCombineTraitsILb0ELb0ELb1ELb0ELi4ELin1EEEEENS_47BlockFmhaFwdSplitKVCombinePipelineDefaultPolicyEEENS_17Default2DEpilogueINS_24Default2DEpilogueProblemIfDF16bLb0ELb0ELb1EEEvEEEEJNSE_14BatchModeKargsEEEENSt9enable_ifIXnt26kattr_no_packed_fp32_ops_vIT_EEvE4typeEDpT2_
; %bb.0:
	s_load_dwordx8 s[8:15], s[0:1], 0x1c
	s_load_dwordx4 s[16:19], s[0:1], 0x0
	s_load_dwordx2 s[28:29], s[0:1], 0x10
	s_load_dwordx2 s[30:31], s[0:1], 0x3c
	;; [unrolled: 1-line block ×3, first 2 shown]
	s_mov_b32 s41, -1
	s_waitcnt lgkmcnt(0)
	s_add_i32 s5, s9, 31
	s_ashr_i32 s6, s5, 31
	s_lshr_b32 s6, s6, 27
	s_add_i32 s5, s5, s6
	s_ashr_i32 s6, s5, 5
	s_abs_i32 s7, s6
	v_cvt_f32_u32_e32 v1, s7
	s_sub_i32 s26, 0, s7
	s_load_dword s5, s[0:1], 0x60
	s_load_dwordx4 s[20:23], s[0:1], 0x50
	s_abs_i32 s1, s2
	v_rcp_iflag_f32_e32 v1, v1
	s_xor_b32 s0, s2, s6
	s_ashr_i32 s0, s0, 31
	v_mul_f32_e32 v1, 0x4f7ffffe, v1
	v_cvt_u32_f32_e32 v1, v1
	s_nop 0
	v_readfirstlane_b32 s27, v1
	s_mul_i32 s26, s26, s27
	s_mul_hi_u32 s26, s27, s26
	s_add_i32 s27, s27, s26
	s_mul_hi_u32 s26, s1, s27
	s_mul_i32 s27, s26, s7
	s_sub_i32 s1, s1, s27
	s_add_i32 s27, s26, 1
	s_sub_i32 s33, s1, s7
	s_cmp_ge_u32 s1, s7
	s_cselect_b32 s26, s27, s26
	s_cselect_b32 s1, s33, s1
	s_add_i32 s27, s26, 1
	s_cmp_ge_u32 s1, s7
	s_cselect_b32 s1, s27, s26
	s_xor_b32 s1, s1, s0
	s_sub_i32 s43, s1, s0
	s_add_i32 s45, s10, 3
	s_getpc_b64 s[0:1]
	s_add_u32 s0, s0, _ZN7ck_tile34BlockFmhaFwdSplitKVCombinePipelineINS_38BlockFmhaSplitKVCombinePipelineProblemIffDF16bLi256ELb0ELi32ENS_31TileFmhaFwdSplitKVCombineTraitsILb0ELb0ELb1ELb0ELi4ELin1EEEEENS_47BlockFmhaFwdSplitKVCombinePipelineDefaultPolicyEE3kM0E@rel32@lo+4
	s_addc_u32 s1, s1, _ZN7ck_tile34BlockFmhaFwdSplitKVCombinePipelineINS_38BlockFmhaSplitKVCombinePipelineProblemIffDF16bLi256ELb0ELi32ENS_31TileFmhaFwdSplitKVCombineTraitsILb0ELb0ELb1ELb0ELi4ELin1EEEEENS_47BlockFmhaFwdSplitKVCombinePipelineDefaultPolicyEE3kM0E@rel32@hi+12
	s_load_dword s33, s[0:1], 0x0
	s_ashr_i32 s0, s45, 31
	s_lshr_b32 s0, s0, 30
	s_add_i32 s0, s45, s0
	s_mul_i32 s46, s43, s6
	s_ashr_i32 s44, s0, 2
	s_and_b32 s40, s0, -4
.LBB2_1:                                ; =>This Inner Loop Header: Depth=1
	s_add_i32 s41, s41, 1
	s_lshl_b32 s0, 1, s41
	s_cmp_lt_u32 s0, s40
	s_cbranch_scc1 .LBB2_1
; %bb.2:
	s_mov_b32 s42, -1
.LBB2_3:                                ; =>This Inner Loop Header: Depth=1
	s_add_i32 s42, s42, 1
	s_lshl_b32 s0, 1, s42
	s_waitcnt lgkmcnt(0)
	s_cmp_lt_u32 s0, s33
	s_cbranch_scc1 .LBB2_3
; %bb.4:
	s_lshl_b64 s[0:1], 1, s41
	s_mov_b32 s6, 0
	s_sub_i32 s7, s0, s40
	s_cmp_lg_u64 s[6:7], 0
	s_cbranch_scc0 .LBB2_41
; %bb.5:
	v_cvt_f32_u32_e32 v1, s40
	v_mov_b32_e32 v2, 0x4f800000
	s_sub_u32 s6, 0, s40
	s_subb_u32 s34, 0, 0
	v_fmac_f32_e32 v1, 0, v2
	v_rcp_f32_e32 v1, v1
	s_nop 0
	v_mul_f32_e32 v1, 0x5f7ffffc, v1
	v_mul_f32_e32 v2, 0x2f800000, v1
	v_trunc_f32_e32 v2, v2
	v_fmamk_f32 v1, v2, 0xcf800000, v1
	v_cvt_u32_f32_e32 v2, v2
	v_cvt_u32_f32_e32 v1, v1
	v_readfirstlane_b32 s35, v2
	v_readfirstlane_b32 s26, v1
	s_mul_i32 s27, s6, s35
	s_mul_hi_u32 s37, s6, s26
	s_mul_i32 s36, s34, s26
	s_add_i32 s27, s37, s27
	s_add_i32 s27, s27, s36
	s_mul_i32 s38, s6, s26
	s_mul_i32 s37, s26, s27
	s_mul_hi_u32 s39, s26, s38
	s_mul_hi_u32 s36, s26, s27
	s_add_u32 s37, s39, s37
	s_addc_u32 s36, 0, s36
	s_mul_hi_u32 s47, s35, s38
	s_mul_i32 s38, s35, s38
	s_add_u32 s37, s37, s38
	s_mul_hi_u32 s39, s35, s27
	s_addc_u32 s36, s36, s47
	s_addc_u32 s37, s39, 0
	s_mul_i32 s27, s35, s27
	s_add_u32 s27, s36, s27
	s_addc_u32 s36, 0, s37
	s_add_u32 s37, s26, s27
	s_cselect_b64 s[26:27], -1, 0
	s_cmp_lg_u64 s[26:27], 0
	s_addc_u32 s35, s35, s36
	s_mul_i32 s26, s6, s35
	s_mul_hi_u32 s27, s6, s37
	s_add_i32 s26, s27, s26
	s_mul_i32 s34, s34, s37
	s_add_i32 s26, s26, s34
	s_mul_i32 s6, s6, s37
	s_mul_hi_u32 s34, s35, s6
	s_mul_i32 s36, s35, s6
	s_mul_i32 s39, s37, s26
	s_mul_hi_u32 s6, s37, s6
	s_mul_hi_u32 s38, s37, s26
	s_add_u32 s6, s6, s39
	s_addc_u32 s38, 0, s38
	s_add_u32 s6, s6, s36
	s_mul_hi_u32 s27, s35, s26
	s_addc_u32 s6, s38, s34
	s_addc_u32 s27, s27, 0
	s_mul_i32 s26, s35, s26
	s_add_u32 s6, s6, s26
	s_addc_u32 s34, 0, s27
	s_add_u32 s6, s37, s6
	s_cselect_b64 s[26:27], -1, 0
	s_cmp_lg_u64 s[26:27], 0
	s_addc_u32 s26, s35, s34
	s_mul_i32 s34, s26, 0
	s_mul_hi_u32 s35, 0, s6
	s_mul_hi_u32 s27, 0, s26
	s_add_u32 s34, s35, s34
	s_addc_u32 s27, 0, s27
	s_mul_hi_u32 s36, s7, s6
	s_mul_i32 s6, s7, s6
	s_add_u32 s6, s34, s6
	s_mul_hi_u32 s35, s7, s26
	s_addc_u32 s6, s27, s36
	s_addc_u32 s27, s35, 0
	s_mul_i32 s26, s7, s26
	s_add_u32 s34, s6, s26
	s_addc_u32 s6, 0, s27
	s_mul_i32 s6, s40, s6
	s_mul_hi_u32 s26, s40, s34
	s_add_u32 s35, s34, 1
	s_add_u32 s36, s34, 2
	s_add_i32 s6, s26, s6
	s_mul_i32 s26, s40, s34
	s_sub_u32 s37, 0, s26
	s_cselect_b64 s[26:27], -1, 0
	s_cmp_lg_u64 s[26:27], 0
	s_subb_u32 s26, s7, s6
	s_sub_u32 s27, s37, s40
	s_cselect_b64 s[6:7], -1, 0
	s_cmp_lg_u64 s[6:7], 0
	s_subb_u32 s6, s26, 0
	s_cmp_ge_u32 s27, s40
	s_cselect_b32 s7, -1, 0
	s_cmp_eq_u32 s6, 0
	s_cselect_b32 s6, s7, -1
	s_cmp_lg_u32 s6, 0
	s_cselect_b32 s6, s36, s35
	s_cmp_ge_u32 s37, s40
	s_cselect_b32 s7, -1, 0
	s_cmp_eq_u32 s26, 0
	s_cselect_b32 s7, s7, -1
	s_cmp_lg_u32 s7, 0
	s_cselect_b32 s34, s6, s34
	s_cbranch_execnz .LBB2_7
.LBB2_6:
	v_cvt_f32_u32_e32 v1, s40
	s_sub_i32 s0, 0, s40
	v_rcp_iflag_f32_e32 v1, v1
	s_nop 0
	v_mul_f32_e32 v1, 0x4f7ffffe, v1
	v_cvt_u32_f32_e32 v1, v1
	s_nop 0
	v_readfirstlane_b32 s1, v1
	s_mul_i32 s0, s0, s1
	s_mul_hi_u32 s0, s1, s0
	s_add_i32 s1, s1, s0
	s_mul_hi_u32 s0, 0, s1
	s_mul_i32 s6, s0, s40
	s_sub_i32 s6, 0, s6
	s_add_i32 s1, s0, 1
	s_sub_i32 s7, s6, s40
	s_cmp_ge_u32 s6, s40
	s_cselect_b32 s0, s1, s0
	s_cselect_b32 s6, s7, s6
	s_add_i32 s1, s0, 1
	s_cmp_ge_u32 s6, s40
	s_cselect_b32 s34, s1, s0
.LBB2_7:
	s_lshl_b64 s[0:1], 1, s42
	s_mov_b32 s6, 0
	s_sub_i32 s7, s0, s33
	s_cmp_lg_u64 s[6:7], 0
	s_cbranch_scc0 .LBB2_42
; %bb.8:
	v_cvt_f32_u32_e32 v1, s33
	v_mov_b32_e32 v2, 0x4f800000
	s_sub_u32 s6, 0, s33
	s_subb_u32 s35, 0, 0
	v_fmac_f32_e32 v1, 0, v2
	v_rcp_f32_e32 v1, v1
	s_nop 0
	v_mul_f32_e32 v1, 0x5f7ffffc, v1
	v_mul_f32_e32 v2, 0x2f800000, v1
	v_trunc_f32_e32 v2, v2
	v_fmamk_f32 v1, v2, 0xcf800000, v1
	v_cvt_u32_f32_e32 v2, v2
	v_cvt_u32_f32_e32 v1, v1
	v_readfirstlane_b32 s36, v2
	v_readfirstlane_b32 s26, v1
	s_mul_i32 s27, s6, s36
	s_mul_hi_u32 s38, s6, s26
	s_mul_i32 s37, s35, s26
	s_add_i32 s27, s38, s27
	s_add_i32 s27, s27, s37
	s_mul_i32 s39, s6, s26
	s_mul_i32 s38, s26, s27
	s_mul_hi_u32 s47, s26, s39
	s_mul_hi_u32 s37, s26, s27
	s_add_u32 s38, s47, s38
	s_addc_u32 s37, 0, s37
	s_mul_hi_u32 s48, s36, s39
	s_mul_i32 s39, s36, s39
	s_add_u32 s38, s38, s39
	s_mul_hi_u32 s47, s36, s27
	s_addc_u32 s37, s37, s48
	s_addc_u32 s38, s47, 0
	s_mul_i32 s27, s36, s27
	s_add_u32 s27, s37, s27
	s_addc_u32 s37, 0, s38
	s_add_u32 s38, s26, s27
	s_cselect_b64 s[26:27], -1, 0
	s_cmp_lg_u64 s[26:27], 0
	s_addc_u32 s36, s36, s37
	s_mul_i32 s26, s6, s36
	s_mul_hi_u32 s27, s6, s38
	s_add_i32 s26, s27, s26
	s_mul_i32 s35, s35, s38
	s_add_i32 s26, s26, s35
	s_mul_i32 s6, s6, s38
	s_mul_hi_u32 s35, s36, s6
	s_mul_i32 s37, s36, s6
	s_mul_i32 s47, s38, s26
	s_mul_hi_u32 s6, s38, s6
	s_mul_hi_u32 s39, s38, s26
	s_add_u32 s6, s6, s47
	s_addc_u32 s39, 0, s39
	s_add_u32 s6, s6, s37
	s_mul_hi_u32 s27, s36, s26
	s_addc_u32 s6, s39, s35
	s_addc_u32 s27, s27, 0
	s_mul_i32 s26, s36, s26
	s_add_u32 s6, s6, s26
	s_addc_u32 s35, 0, s27
	s_add_u32 s6, s38, s6
	s_cselect_b64 s[26:27], -1, 0
	s_cmp_lg_u64 s[26:27], 0
	s_addc_u32 s26, s36, s35
	s_mul_i32 s35, s26, 0
	s_mul_hi_u32 s36, 0, s6
	s_mul_hi_u32 s27, 0, s26
	s_add_u32 s35, s36, s35
	s_addc_u32 s27, 0, s27
	s_mul_hi_u32 s37, s7, s6
	s_mul_i32 s6, s7, s6
	s_add_u32 s6, s35, s6
	s_mul_hi_u32 s36, s7, s26
	s_addc_u32 s6, s27, s37
	s_addc_u32 s27, s36, 0
	s_mul_i32 s26, s7, s26
	s_add_u32 s35, s6, s26
	s_addc_u32 s6, 0, s27
	s_mul_i32 s6, s33, s6
	s_mul_hi_u32 s26, s33, s35
	s_add_u32 s36, s35, 1
	s_add_u32 s37, s35, 2
	s_add_i32 s6, s26, s6
	s_mul_i32 s26, s33, s35
	s_sub_u32 s38, 0, s26
	s_cselect_b64 s[26:27], -1, 0
	s_cmp_lg_u64 s[26:27], 0
	s_subb_u32 s26, s7, s6
	s_sub_u32 s27, s38, s33
	s_cselect_b64 s[6:7], -1, 0
	s_cmp_lg_u64 s[6:7], 0
	s_subb_u32 s6, s26, 0
	s_cmp_ge_u32 s27, s33
	s_cselect_b32 s7, -1, 0
	s_cmp_eq_u32 s6, 0
	s_cselect_b32 s6, s7, -1
	s_cmp_lg_u32 s6, 0
	s_cselect_b32 s6, s37, s36
	s_cmp_ge_u32 s38, s33
	s_cselect_b32 s7, -1, 0
	s_cmp_eq_u32 s26, 0
	s_cselect_b32 s7, s7, -1
	s_cmp_lg_u32 s7, 0
	s_cselect_b32 s36, s6, s35
	s_cbranch_execnz .LBB2_10
.LBB2_9:
	v_cvt_f32_u32_e32 v1, s33
	s_sub_i32 s0, 0, s33
	v_rcp_iflag_f32_e32 v1, v1
	s_nop 0
	v_mul_f32_e32 v1, 0x4f7ffffe, v1
	v_cvt_u32_f32_e32 v1, v1
	s_nop 0
	v_readfirstlane_b32 s1, v1
	s_mul_i32 s0, s0, s1
	s_mul_hi_u32 s0, s1, s0
	s_add_i32 s1, s1, s0
	s_mul_hi_u32 s0, 0, s1
	s_mul_i32 s6, s0, s33
	s_sub_i32 s6, 0, s6
	s_add_i32 s1, s0, 1
	s_sub_i32 s7, s6, s33
	s_cmp_ge_u32 s6, s33
	s_cselect_b32 s0, s1, s0
	s_cselect_b32 s6, s7, s6
	s_add_i32 s1, s0, 1
	s_cmp_ge_u32 s6, s33
	s_cselect_b32 s36, s1, s0
.LBB2_10:
	v_readfirstlane_b32 s0, v0
	v_mbcnt_lo_u32_b32 v1, -1, 0
	v_mbcnt_hi_u32_b32 v1, -1, v1
	s_lshr_b32 s0, s0, 3
	v_lshrrev_b32_e32 v7, 3, v1
	s_and_b32 s0, s0, 8
	s_lshl_b32 s35, s43, 3
	v_and_b32_e32 v6, 7, v1
	v_add_u32_e32 v3, s0, v7
	s_add_i32 s37, s10, -1
	v_cmp_gt_i32_e32 vcc, s10, v3
	v_mov_b32_e32 v4, 0
	v_or_b32_e32 v2, s35, v6
	s_and_saveexec_b64 s[0:1], vcc
	s_cbranch_execz .LBB2_12
; %bb.11:
	s_mul_hi_i32 s27, s13, s3
	s_mul_i32 s26, s13, s3
	s_lshl_b64 s[26:27], s[26:27], 2
	s_mul_hi_i32 s7, s22, s4
	s_mul_i32 s6, s22, s4
	s_add_u32 s13, s16, s26
	s_addc_u32 s16, s17, s27
	s_lshl_b64 s[6:7], s[6:7], 2
	s_add_u32 s48, s13, s6
	s_mul_i32 s6, s30, s37
	s_addc_u32 s49, s16, s7
	s_add_i32 s6, s6, s8
	v_mul_lo_u32 v3, v3, s30
	v_add_lshl_u32 v3, v2, v3, 2
	s_lshl_b32 s50, s6, 2
	s_mov_b32 s51, 0x20000
	buffer_load_dword v4, v3, s[48:51], 0 offen
.LBB2_12:
	s_or_b64 exec, exec, s[0:1]
	v_readfirstlane_b32 s0, v0
	v_mul_u32_u24_e32 v3, 17, v6
	s_lshr_b32 s0, s0, 1
	v_lshlrev_b32_e32 v3, 2, v3
	v_lshlrev_b32_e32 v5, 2, v7
	s_and_b32 s0, s0, 32
	v_add3_u32 v5, v3, v5, s0
	s_waitcnt vmcnt(0)
	ds_write_b32 v5, v4
	; sched_barrier mask(0x00000000)
	v_lshrrev_b32_e32 v4, 2, v1
	v_and_b32_e32 v8, 30, v4
	v_cmp_gt_i32_e32 vcc, s10, v8
	v_mov_b32_e32 v5, 0xff800000
	v_mov_b32_e32 v11, 0xff800000
	s_waitcnt lgkmcnt(0)
	s_barrier
	s_and_saveexec_b64 s[0:1], vcc
; %bb.13:
	v_lshl_add_u32 v9, v8, 2, v3
	ds_read_b32 v11, v9
; %bb.14:
	s_or_b64 exec, exec, s[0:1]
	v_or_b32_e32 v4, 1, v4
	v_cmp_gt_i32_e64 s[0:1], s10, v4
	s_and_saveexec_b64 s[6:7], s[0:1]
; %bb.15:
	v_lshl_add_u32 v5, v4, 2, v3
	ds_read_b32 v5, v5
; %bb.16:
	s_or_b64 exec, exec, s[6:7]
	s_mov_b32 s13, 0xff800000
	s_waitcnt lgkmcnt(0)
	v_max3_f32 v10, v11, s13, v5
	v_lshlrev_b32_e32 v9, 2, v1
	ds_bpermute_b32 v12, v9, v10 offset:128
	s_mov_b32 s6, 0x3fb8aa3b
	s_mov_b32 s16, 0xc2ce8ed0
	;; [unrolled: 1-line block ×3, first 2 shown]
	s_mov_b64 s[26:27], 0
	s_waitcnt lgkmcnt(0)
	v_max_f32_e32 v12, v12, v12
	v_max_f32_e32 v10, v10, v12
	ds_bpermute_b32 v12, v9, v10 offset:64
	s_waitcnt lgkmcnt(0)
	s_barrier
	v_max_f32_e32 v12, v12, v12
	v_max_f32_e32 v10, v10, v12
	ds_bpermute_b32 v12, v9, v10 offset:32
	s_waitcnt lgkmcnt(0)
	v_max_f32_e32 v12, v12, v12
	v_max_f32_e32 v10, v10, v12
	v_sub_f32_e32 v12, v11, v10
	v_mul_f32_e32 v14, 0x3fb8aa3b, v12
	v_sub_f32_e32 v13, v5, v10
	v_fma_f32 v16, v12, s6, -v14
	v_rndne_f32_e32 v17, v14
	v_mul_f32_e32 v15, 0x3fb8aa3b, v13
	v_fmac_f32_e32 v16, 0x32a5705f, v12
	v_sub_f32_e32 v14, v14, v17
	v_fma_f32 v18, v13, s6, -v15
	v_rndne_f32_e32 v19, v15
	v_add_f32_e32 v14, v14, v16
	v_cvt_i32_f32_e32 v17, v17
	v_exp_f32_e32 v14, v14
	v_fmac_f32_e32 v18, 0x32a5705f, v13
	v_sub_f32_e32 v15, v15, v19
	v_add_f32_e32 v15, v15, v18
	v_exp_f32_e32 v15, v15
	v_cvt_i32_f32_e32 v16, v19
	v_ldexp_f32 v14, v14, v17
	v_cmp_ngt_f32_e64 s[6:7], s16, v12
	v_mov_b32_e32 v17, 0x7f800000
	s_nop 0
	v_cndmask_b32_e64 v14, 0, v14, s[6:7]
	v_cmp_nlt_f32_e64 s[6:7], s17, v12
	s_nop 1
	v_cndmask_b32_e64 v12, v17, v14, s[6:7]
	v_ldexp_f32 v14, v15, v16
	v_cmp_ngt_f32_e64 s[6:7], s16, v13
	s_nop 1
	v_cndmask_b32_e64 v14, 0, v14, s[6:7]
	v_cmp_nlt_f32_e64 s[6:7], s17, v13
	s_nop 1
	v_cndmask_b32_e64 v13, v17, v14, s[6:7]
	v_add_f32_e32 v12, v13, v12
	v_cmp_neq_f32_e64 s[6:7], s13, v10
	v_mov_b32_e32 v14, 0xff800000
	s_nop 0
	v_cndmask_b32_e64 v12, 0, v12, s[6:7]
	ds_bpermute_b32 v13, v9, v12 offset:128
	s_mov_b32 s7, 0x3f317217
	s_mov_b32 s6, 0x7f800000
	s_waitcnt lgkmcnt(0)
	v_add_f32_e32 v12, v12, v13
	ds_bpermute_b32 v13, v9, v12 offset:64
	s_waitcnt lgkmcnt(0)
	v_add_f32_e32 v12, v12, v13
	ds_bpermute_b32 v13, v9, v12 offset:32
	s_waitcnt lgkmcnt(0)
	v_add_f32_e32 v12, v12, v13
	v_log_f32_e32 v13, v12
	s_nop 0
	v_mul_f32_e32 v15, 0x3f317217, v13
	v_fma_f32 v15, v13, s7, -v15
	v_fmamk_f32 v15, v13, 0x3377d1cf, v15
	v_fmac_f32_e32 v15, 0x3f317217, v13
	v_cmp_lt_f32_e64 s[6:7], |v13|, s6
	s_nop 1
	v_cndmask_b32_e64 v13, v13, v15, s[6:7]
	v_add_f32_e32 v10, v10, v13
	v_cmp_neq_f32_e64 s[6:7], 0, v12
                                        ; implicit-def: $vgpr12
	s_nop 1
	v_cndmask_b32_e64 v10, v14, v10, s[6:7]
	v_cmp_neq_f32_e64 s[6:7], s13, v10
	s_and_saveexec_b64 s[16:17], s[6:7]
	s_xor_b64 s[16:17], exec, s[16:17]
	s_cbranch_execnz .LBB2_33
; %bb.17:
	s_andn2_saveexec_b64 s[6:7], s[16:17]
	s_cbranch_execnz .LBB2_38
.LBB2_18:
	s_or_b64 exec, exec, s[6:7]
	s_and_saveexec_b64 s[0:1], s[26:27]
.LBB2_19:
	v_lshl_add_u32 v3, v4, 2, v3
	ds_write_b32 v3, v12
.LBB2_20:
	s_or_b64 exec, exec, s[0:1]
	s_mul_hi_i32 s7, s20, s3
	s_mul_i32 s6, s20, s3
	s_lshl_b64 s[6:7], s[6:7], 2
	s_mul_hi_i32 s1, s21, s4
	s_mul_i32 s0, s21, s4
	s_add_u32 s6, s24, s6
	s_addc_u32 s7, s25, s7
	s_lshl_b64 s[0:1], s[0:1], 2
	s_add_u32 s24, s6, s0
	s_addc_u32 s25, s7, s1
	s_sub_i32 s0, s2, s46
	s_add_i32 s6, s8, -1
	s_lshl_b32 s2, s0, 5
	s_lshl_b32 s26, s8, 2
	s_mov_b32 s27, 0x20000
	v_lshlrev_b32_e32 v2, 2, v2
	s_mov_b32 s7, 0
	v_readfirstlane_b32 s0, v0
	buffer_store_dword v10, v2, s[24:27], 0 offen
	; sched_barrier mask(0x00000000)
	v_mov_b32_e32 v5, 0
	s_cmp_lt_i32 s45, 4
	v_mov_b32_e32 v4, v5
	v_mov_b32_e32 v3, v5
	;; [unrolled: 1-line block ×3, first 2 shown]
	s_waitcnt lgkmcnt(0)
	s_barrier
	s_cbranch_scc1 .LBB2_32
; %bb.21:
	s_mul_i32 s17, s11, s6
	s_mul_i32 s44, s44, s43
	;; [unrolled: 1-line block ×3, first 2 shown]
	s_add_i32 s17, s17, s9
	s_mul_hi_i32 s21, s14, s3
	s_mul_i32 s20, s14, s3
	s_add_i32 s8, s36, 1
	s_add_i32 s13, s34, 1
	s_lshl_b32 s1, s44, 5
	s_add_i32 s22, s17, s16
	s_lshl_b64 s[20:21], s[20:21], 2
	s_mul_hi_i32 s17, s23, s4
	s_mul_i32 s16, s23, s4
	s_add_u32 s14, s18, s20
	s_addc_u32 s18, s19, s21
	s_lshl_b64 s[16:17], s[16:17], 2
	s_add_u32 s24, s14, s16
	s_addc_u32 s25, s18, s17
	s_lshr_b32 s0, s0, 3
	s_and_b32 s0, s0, 0x1ffffff8
	s_add_i32 s0, s0, s1
	v_add_u32_e32 v14, s0, v7
	v_mul_hi_u32 v2, s8, v14
	v_add_u32_e32 v2, v14, v2
	v_lshrrev_b32_e32 v2, s42, v2
	v_mul_hi_u32 v3, s13, v2
	v_add_u32_e32 v3, v2, v3
	v_lshrrev_b32_e32 v17, s41, v3
	v_mul_lo_u32 v3, v17, s40
	v_sub_u32_e32 v19, v2, v3
	v_mul_lo_u32 v2, v2, s33
	v_sub_u32_e32 v8, v14, v2
	v_mad_u64_u32 v[2:3], s[0:1], v17, s33, v[8:9]
	v_lshl_or_b32 v4, v6, 2, s2
	v_mul_lo_u32 v5, v19, s31
	v_mul_lo_u32 v2, v2, s11
	v_add3_u32 v15, v4, v5, v2
	v_mov_b32_e32 v2, 0
	s_lshl_b32 s26, s22, 2
	v_mul_u32_u24_e32 v16, 0x44, v7
	v_add_u32_e32 v6, 32, v14
	s_sub_i32 s14, 0, s33
	v_mov_b32_e32 v18, v19
	v_mov_b32_e32 v3, v2
	;; [unrolled: 1-line block ×4, first 2 shown]
.LBB2_22:                               ; =>This Inner Loop Header: Depth=1
	v_cmp_gt_i32_e32 vcc, s10, v18
	v_lshlrev_b32_e32 v20, 2, v15
	v_mov_b32_e32 v10, 0
	s_and_saveexec_b64 s[0:1], vcc
	s_cbranch_execz .LBB2_24
; %bb.23:                               ;   in Loop: Header=BB2_22 Depth=1
	buffer_load_dword v10, v20, s[24:27], 0 offen
.LBB2_24:                               ;   in Loop: Header=BB2_22 Depth=1
	s_or_b64 exec, exec, s[0:1]
	v_mov_b32_e32 v12, 0
	v_mov_b32_e32 v11, 0
	s_and_saveexec_b64 s[0:1], vcc
	s_cbranch_execnz .LBB2_30
; %bb.25:                               ;   in Loop: Header=BB2_22 Depth=1
	s_or_b64 exec, exec, s[0:1]
	s_and_saveexec_b64 s[0:1], vcc
	s_cbranch_execnz .LBB2_31
.LBB2_26:                               ;   in Loop: Header=BB2_22 Depth=1
	s_or_b64 exec, exec, s[0:1]
	v_mov_b32_e32 v13, 0
	s_and_saveexec_b64 s[0:1], vcc
	s_cbranch_execz .LBB2_28
.LBB2_27:                               ;   in Loop: Header=BB2_22 Depth=1
	buffer_load_dword v13, v20, s[24:27], 0 offen offset:12
.LBB2_28:                               ;   in Loop: Header=BB2_22 Depth=1
	s_or_b64 exec, exec, s[0:1]
	v_readfirstlane_b32 s0, v0
	s_lshr_b32 s0, s0, 4
	s_and_b32 s0, s0, 0xffffffc
	v_add_u32_e32 v20, s0, v16
	ds_read_b32 v20, v20
	v_add_u32_e32 v14, 32, v14
	v_mul_hi_u32 v21, s8, v6
	v_add_u32_e32 v21, v14, v21
	s_add_i32 s7, s7, 4
	s_waitcnt vmcnt(0) lgkmcnt(0)
	v_pk_fma_f32 v[4:5], v[12:13], v[20:21], v[4:5] op_sel_hi:[1,0,1]
	v_lshrrev_b32_e32 v13, s42, v21
	v_pk_fma_f32 v[2:3], v[10:11], v[20:21], v[2:3] op_sel_hi:[1,0,1]
	v_mad_u64_u32 v[10:11], s[0:1], s14, v13, v[6:7]
	v_mul_hi_u32 v11, s13, v13
	v_add_u32_e32 v11, v13, v11
	v_lshrrev_b32_e32 v11, s41, v11
	v_mul_lo_u32 v12, v11, s40
	v_sub_u32_e32 v17, v11, v17
	v_sub_u32_e32 v12, v13, v12
	;; [unrolled: 1-line block ×3, first 2 shown]
	v_mul_lo_u32 v13, s33, v13
	v_sub_u32_e32 v8, v13, v8
	v_sub_u32_e32 v19, v12, v19
	v_add_u32_e32 v8, v6, v8
	v_mul_lo_u32 v13, v19, s31
	v_mul_lo_u32 v8, v8, s11
	v_add_u32_e32 v18, v19, v18
	v_add3_u32 v15, v13, v15, v8
	v_add_u32_e32 v16, 16, v16
	s_cmp_lt_i32 s7, s40
	v_add_u32_e32 v6, 32, v6
	s_cbranch_scc0 .LBB2_32
; %bb.29:                               ;   in Loop: Header=BB2_22 Depth=1
	v_mov_b32_e32 v8, v10
	v_mov_b32_e32 v17, v11
	v_mov_b32_e32 v19, v12
	s_branch .LBB2_22
.LBB2_30:                               ;   in Loop: Header=BB2_22 Depth=1
	buffer_load_dword v11, v20, s[24:27], 0 offen offset:4
	s_or_b64 exec, exec, s[0:1]
	s_and_saveexec_b64 s[0:1], vcc
	s_cbranch_execz .LBB2_26
.LBB2_31:                               ;   in Loop: Header=BB2_22 Depth=1
	buffer_load_dword v12, v20, s[24:27], 0 offen offset:8
	s_or_b64 exec, exec, s[0:1]
	v_mov_b32_e32 v13, 0
	s_and_saveexec_b64 s[0:1], vcc
	s_cbranch_execnz .LBB2_27
	s_branch .LBB2_28
.LBB2_32:
	v_readfirstlane_b32 s0, v0
	s_lshr_b32 s1, s0, 3
	s_and_b32 s1, s1, 0xffffff8
	v_and_b32_e32 v0, 28, v9
	v_add_lshl_u32 v6, s1, v7, 4
	s_movk_i32 s1, 0x84
	v_mad_u32_u24 v0, v0, s1, v6
	ds_write_b128 v0, v[2:5] offset:540
	; sched_barrier mask(0x00000000)
	s_lshr_b32 s0, s0, 5
	s_and_b32 s0, s0, 0x7fffffe
	v_lshrrev_b32_e32 v0, 5, v1
	v_bfe_u32 v2, v1, 2, 3
	v_add_u32_e32 v0, s0, v0
	v_mul_u32_u24_e32 v2, 0x210, v2
	v_lshl_add_u32 v2, v0, 4, v2
	v_and_b32_e32 v3, 3, v1
	v_lshl_or_b32 v4, v3, 2, v2
	s_waitcnt lgkmcnt(0)
	s_barrier
	ds_read2_b32 v[2:3], v4 offset0:199 offset1:231
	ds_read2_b32 v[4:5], v4 offset0:135 offset1:167
	s_mul_i32 s0, s12, s6
	s_add_i32 s6, s0, s9
	s_mul_hi_i32 s1, s15, s3
	s_mul_i32 s0, s15, s3
	s_lshl_b64 s[0:1], s[0:1], 1
	s_add_u32 s3, s28, s0
	s_waitcnt lgkmcnt(0)
	v_add_f32_e32 v4, 0, v4
	s_addc_u32 s7, s29, s1
	s_mul_hi_i32 s1, s5, s4
	s_mul_i32 s0, s5, s4
	v_add_f32_e32 v4, v5, v4
	s_lshl_b64 s[0:1], s[0:1], 1
	v_add_f32_e32 v2, v2, v4
	v_add_u32_e32 v0, s35, v0
	s_add_u32 s0, s3, s0
	v_add_f32_e32 v2, v3, v2
	v_and_or_b32 v1, v1, 31, s2
	v_mul_lo_u32 v0, v0, s12
	s_addc_u32 s1, s7, s1
	v_cvt_pk_bf16_f32 v2, v2, s0
	s_lshl_b32 s2, s6, 1
	s_mov_b32 s3, 0x20000
	v_add_lshl_u32 v0, v1, v0, 1
	buffer_store_short v2, v0, s[0:3], 0 offen
	s_endpgm
.LBB2_33:
	s_and_saveexec_b64 s[26:27], vcc
	s_cbranch_execz .LBB2_35
; %bb.34:
	v_sub_f32_e32 v11, v11, v10
	s_mov_b32 s6, 0x3fb8aa3b
	v_mul_f32_e32 v12, 0x3fb8aa3b, v11
	v_fma_f32 v13, v11, s6, -v12
	v_rndne_f32_e32 v14, v12
	v_fmamk_f32 v13, v11, 0x32a5705f, v13
	v_sub_f32_e32 v12, v12, v14
	v_add_f32_e32 v12, v12, v13
	v_exp_f32_e32 v12, v12
	v_cvt_i32_f32_e32 v13, v14
	s_mov_b32 s6, 0xc2ce8ed0
	v_cmp_ngt_f32_e64 s[6:7], s6, v11
	v_lshl_add_u32 v8, v8, 2, v3
	v_ldexp_f32 v12, v12, v13
	v_cndmask_b32_e64 v12, 0, v12, s[6:7]
	s_mov_b32 s6, 0x42b17218
	v_mov_b32_e32 v13, 0x7f800000
	v_cmp_nlt_f32_e64 s[6:7], s6, v11
	s_nop 1
	v_cndmask_b32_e64 v11, v13, v12, s[6:7]
	ds_write_b32 v8, v11
.LBB2_35:
	s_or_b64 exec, exec, s[26:27]
	s_mov_b64 s[26:27], 0
                                        ; implicit-def: $vgpr12
	s_and_saveexec_b64 s[6:7], s[0:1]
	s_xor_b64 s[38:39], exec, s[6:7]
	s_cbranch_execz .LBB2_37
; %bb.36:
	v_sub_f32_e32 v5, v5, v10
	s_mov_b32 s6, 0x3fb8aa3b
	v_mul_f32_e32 v8, 0x3fb8aa3b, v5
	v_fma_f32 v11, v5, s6, -v8
	v_rndne_f32_e32 v12, v8
	v_fmamk_f32 v11, v5, 0x32a5705f, v11
	v_sub_f32_e32 v8, v8, v12
	v_add_f32_e32 v8, v8, v11
	v_exp_f32_e32 v8, v8
	v_cvt_i32_f32_e32 v11, v12
	s_mov_b32 s6, 0xc2ce8ed0
	v_cmp_ngt_f32_e64 s[6:7], s6, v5
	s_mov_b64 s[26:27], exec
	v_ldexp_f32 v8, v8, v11
	v_cndmask_b32_e64 v8, 0, v8, s[6:7]
	s_mov_b32 s6, 0x42b17218
	v_mov_b32_e32 v11, 0x7f800000
	v_cmp_nlt_f32_e64 s[6:7], s6, v5
	s_nop 1
	v_cndmask_b32_e64 v12, v11, v8, s[6:7]
.LBB2_37:
	s_or_b64 exec, exec, s[38:39]
	s_and_b64 s[26:27], s[26:27], exec
                                        ; implicit-def: $vgpr8
	s_andn2_saveexec_b64 s[6:7], s[16:17]
	s_cbranch_execz .LBB2_18
.LBB2_38:
	s_and_saveexec_b64 s[16:17], vcc
; %bb.39:
	v_lshl_add_u32 v5, v8, 2, v3
	v_mov_b32_e32 v8, 0
	ds_write_b32 v5, v8
; %bb.40:
	s_or_b64 exec, exec, s[16:17]
	s_andn2_b64 s[16:17], s[26:27], exec
	s_and_b64 s[0:1], s[0:1], exec
	v_mov_b32_e32 v12, 0
	s_or_b64 s[26:27], s[16:17], s[0:1]
	s_or_b64 exec, exec, s[6:7]
	s_and_saveexec_b64 s[0:1], s[26:27]
	s_cbranch_execnz .LBB2_19
	s_branch .LBB2_20
.LBB2_41:
                                        ; implicit-def: $sgpr34_sgpr35
	s_branch .LBB2_6
.LBB2_42:
                                        ; implicit-def: $sgpr36_sgpr37
	s_branch .LBB2_9
	.section	.rodata,"a",@progbits
	.p2align	6, 0x0
	.amdhsa_kernel _ZN7ck_tile6kentryINS_6gfx9_tELi2ENS_27FmhaFwdSplitKVCombineKernelINS_34BlockFmhaFwdSplitKVCombinePipelineINS_38BlockFmhaSplitKVCombinePipelineProblemIffDF16bLi256ELb0ELi32ENS_31TileFmhaFwdSplitKVCombineTraitsILb0ELb0ELb1ELb0ELi4ELin1EEEEENS_47BlockFmhaFwdSplitKVCombinePipelineDefaultPolicyEEENS_17Default2DEpilogueINS_24Default2DEpilogueProblemIfDF16bLb0ELb0ELb1EEEvEEEEJNSE_14BatchModeKargsEEEENSt9enable_ifIXnt26kattr_no_packed_fp32_ops_vIT_EEvE4typeEDpT2_
		.amdhsa_group_segment_fixed_size 4748
		.amdhsa_private_segment_fixed_size 0
		.amdhsa_kernarg_size 104
		.amdhsa_user_sgpr_count 2
		.amdhsa_user_sgpr_dispatch_ptr 0
		.amdhsa_user_sgpr_queue_ptr 0
		.amdhsa_user_sgpr_kernarg_segment_ptr 1
		.amdhsa_user_sgpr_dispatch_id 0
		.amdhsa_user_sgpr_kernarg_preload_length 0
		.amdhsa_user_sgpr_kernarg_preload_offset 0
		.amdhsa_user_sgpr_private_segment_size 0
		.amdhsa_uses_dynamic_stack 0
		.amdhsa_enable_private_segment 0
		.amdhsa_system_sgpr_workgroup_id_x 1
		.amdhsa_system_sgpr_workgroup_id_y 1
		.amdhsa_system_sgpr_workgroup_id_z 1
		.amdhsa_system_sgpr_workgroup_info 0
		.amdhsa_system_vgpr_workitem_id 0
		.amdhsa_next_free_vgpr 22
		.amdhsa_next_free_sgpr 52
		.amdhsa_accum_offset 24
		.amdhsa_reserve_vcc 1
		.amdhsa_float_round_mode_32 0
		.amdhsa_float_round_mode_16_64 0
		.amdhsa_float_denorm_mode_32 0
		.amdhsa_float_denorm_mode_16_64 3
		.amdhsa_dx10_clamp 1
		.amdhsa_ieee_mode 1
		.amdhsa_fp16_overflow 0
		.amdhsa_tg_split 0
		.amdhsa_exception_fp_ieee_invalid_op 0
		.amdhsa_exception_fp_denorm_src 0
		.amdhsa_exception_fp_ieee_div_zero 0
		.amdhsa_exception_fp_ieee_overflow 0
		.amdhsa_exception_fp_ieee_underflow 0
		.amdhsa_exception_fp_ieee_inexact 0
		.amdhsa_exception_int_div_zero 0
	.end_amdhsa_kernel
	.section	.text._ZN7ck_tile6kentryINS_6gfx9_tELi2ENS_27FmhaFwdSplitKVCombineKernelINS_34BlockFmhaFwdSplitKVCombinePipelineINS_38BlockFmhaSplitKVCombinePipelineProblemIffDF16bLi256ELb0ELi32ENS_31TileFmhaFwdSplitKVCombineTraitsILb0ELb0ELb1ELb0ELi4ELin1EEEEENS_47BlockFmhaFwdSplitKVCombinePipelineDefaultPolicyEEENS_17Default2DEpilogueINS_24Default2DEpilogueProblemIfDF16bLb0ELb0ELb1EEEvEEEEJNSE_14BatchModeKargsEEEENSt9enable_ifIXnt26kattr_no_packed_fp32_ops_vIT_EEvE4typeEDpT2_,"axG",@progbits,_ZN7ck_tile6kentryINS_6gfx9_tELi2ENS_27FmhaFwdSplitKVCombineKernelINS_34BlockFmhaFwdSplitKVCombinePipelineINS_38BlockFmhaSplitKVCombinePipelineProblemIffDF16bLi256ELb0ELi32ENS_31TileFmhaFwdSplitKVCombineTraitsILb0ELb0ELb1ELb0ELi4ELin1EEEEENS_47BlockFmhaFwdSplitKVCombinePipelineDefaultPolicyEEENS_17Default2DEpilogueINS_24Default2DEpilogueProblemIfDF16bLb0ELb0ELb1EEEvEEEEJNSE_14BatchModeKargsEEEENSt9enable_ifIXnt26kattr_no_packed_fp32_ops_vIT_EEvE4typeEDpT2_,comdat
.Lfunc_end2:
	.size	_ZN7ck_tile6kentryINS_6gfx9_tELi2ENS_27FmhaFwdSplitKVCombineKernelINS_34BlockFmhaFwdSplitKVCombinePipelineINS_38BlockFmhaSplitKVCombinePipelineProblemIffDF16bLi256ELb0ELi32ENS_31TileFmhaFwdSplitKVCombineTraitsILb0ELb0ELb1ELb0ELi4ELin1EEEEENS_47BlockFmhaFwdSplitKVCombinePipelineDefaultPolicyEEENS_17Default2DEpilogueINS_24Default2DEpilogueProblemIfDF16bLb0ELb0ELb1EEEvEEEEJNSE_14BatchModeKargsEEEENSt9enable_ifIXnt26kattr_no_packed_fp32_ops_vIT_EEvE4typeEDpT2_, .Lfunc_end2-_ZN7ck_tile6kentryINS_6gfx9_tELi2ENS_27FmhaFwdSplitKVCombineKernelINS_34BlockFmhaFwdSplitKVCombinePipelineINS_38BlockFmhaSplitKVCombinePipelineProblemIffDF16bLi256ELb0ELi32ENS_31TileFmhaFwdSplitKVCombineTraitsILb0ELb0ELb1ELb0ELi4ELin1EEEEENS_47BlockFmhaFwdSplitKVCombinePipelineDefaultPolicyEEENS_17Default2DEpilogueINS_24Default2DEpilogueProblemIfDF16bLb0ELb0ELb1EEEvEEEEJNSE_14BatchModeKargsEEEENSt9enable_ifIXnt26kattr_no_packed_fp32_ops_vIT_EEvE4typeEDpT2_
                                        ; -- End function
	.set _ZN7ck_tile6kentryINS_6gfx9_tELi2ENS_27FmhaFwdSplitKVCombineKernelINS_34BlockFmhaFwdSplitKVCombinePipelineINS_38BlockFmhaSplitKVCombinePipelineProblemIffDF16bLi256ELb0ELi32ENS_31TileFmhaFwdSplitKVCombineTraitsILb0ELb0ELb1ELb0ELi4ELin1EEEEENS_47BlockFmhaFwdSplitKVCombinePipelineDefaultPolicyEEENS_17Default2DEpilogueINS_24Default2DEpilogueProblemIfDF16bLb0ELb0ELb1EEEvEEEEJNSE_14BatchModeKargsEEEENSt9enable_ifIXnt26kattr_no_packed_fp32_ops_vIT_EEvE4typeEDpT2_.num_vgpr, 22
	.set _ZN7ck_tile6kentryINS_6gfx9_tELi2ENS_27FmhaFwdSplitKVCombineKernelINS_34BlockFmhaFwdSplitKVCombinePipelineINS_38BlockFmhaSplitKVCombinePipelineProblemIffDF16bLi256ELb0ELi32ENS_31TileFmhaFwdSplitKVCombineTraitsILb0ELb0ELb1ELb0ELi4ELin1EEEEENS_47BlockFmhaFwdSplitKVCombinePipelineDefaultPolicyEEENS_17Default2DEpilogueINS_24Default2DEpilogueProblemIfDF16bLb0ELb0ELb1EEEvEEEEJNSE_14BatchModeKargsEEEENSt9enable_ifIXnt26kattr_no_packed_fp32_ops_vIT_EEvE4typeEDpT2_.num_agpr, 0
	.set _ZN7ck_tile6kentryINS_6gfx9_tELi2ENS_27FmhaFwdSplitKVCombineKernelINS_34BlockFmhaFwdSplitKVCombinePipelineINS_38BlockFmhaSplitKVCombinePipelineProblemIffDF16bLi256ELb0ELi32ENS_31TileFmhaFwdSplitKVCombineTraitsILb0ELb0ELb1ELb0ELi4ELin1EEEEENS_47BlockFmhaFwdSplitKVCombinePipelineDefaultPolicyEEENS_17Default2DEpilogueINS_24Default2DEpilogueProblemIfDF16bLb0ELb0ELb1EEEvEEEEJNSE_14BatchModeKargsEEEENSt9enable_ifIXnt26kattr_no_packed_fp32_ops_vIT_EEvE4typeEDpT2_.numbered_sgpr, 52
	.set _ZN7ck_tile6kentryINS_6gfx9_tELi2ENS_27FmhaFwdSplitKVCombineKernelINS_34BlockFmhaFwdSplitKVCombinePipelineINS_38BlockFmhaSplitKVCombinePipelineProblemIffDF16bLi256ELb0ELi32ENS_31TileFmhaFwdSplitKVCombineTraitsILb0ELb0ELb1ELb0ELi4ELin1EEEEENS_47BlockFmhaFwdSplitKVCombinePipelineDefaultPolicyEEENS_17Default2DEpilogueINS_24Default2DEpilogueProblemIfDF16bLb0ELb0ELb1EEEvEEEEJNSE_14BatchModeKargsEEEENSt9enable_ifIXnt26kattr_no_packed_fp32_ops_vIT_EEvE4typeEDpT2_.num_named_barrier, 0
	.set _ZN7ck_tile6kentryINS_6gfx9_tELi2ENS_27FmhaFwdSplitKVCombineKernelINS_34BlockFmhaFwdSplitKVCombinePipelineINS_38BlockFmhaSplitKVCombinePipelineProblemIffDF16bLi256ELb0ELi32ENS_31TileFmhaFwdSplitKVCombineTraitsILb0ELb0ELb1ELb0ELi4ELin1EEEEENS_47BlockFmhaFwdSplitKVCombinePipelineDefaultPolicyEEENS_17Default2DEpilogueINS_24Default2DEpilogueProblemIfDF16bLb0ELb0ELb1EEEvEEEEJNSE_14BatchModeKargsEEEENSt9enable_ifIXnt26kattr_no_packed_fp32_ops_vIT_EEvE4typeEDpT2_.private_seg_size, 0
	.set _ZN7ck_tile6kentryINS_6gfx9_tELi2ENS_27FmhaFwdSplitKVCombineKernelINS_34BlockFmhaFwdSplitKVCombinePipelineINS_38BlockFmhaSplitKVCombinePipelineProblemIffDF16bLi256ELb0ELi32ENS_31TileFmhaFwdSplitKVCombineTraitsILb0ELb0ELb1ELb0ELi4ELin1EEEEENS_47BlockFmhaFwdSplitKVCombinePipelineDefaultPolicyEEENS_17Default2DEpilogueINS_24Default2DEpilogueProblemIfDF16bLb0ELb0ELb1EEEvEEEEJNSE_14BatchModeKargsEEEENSt9enable_ifIXnt26kattr_no_packed_fp32_ops_vIT_EEvE4typeEDpT2_.uses_vcc, 1
	.set _ZN7ck_tile6kentryINS_6gfx9_tELi2ENS_27FmhaFwdSplitKVCombineKernelINS_34BlockFmhaFwdSplitKVCombinePipelineINS_38BlockFmhaSplitKVCombinePipelineProblemIffDF16bLi256ELb0ELi32ENS_31TileFmhaFwdSplitKVCombineTraitsILb0ELb0ELb1ELb0ELi4ELin1EEEEENS_47BlockFmhaFwdSplitKVCombinePipelineDefaultPolicyEEENS_17Default2DEpilogueINS_24Default2DEpilogueProblemIfDF16bLb0ELb0ELb1EEEvEEEEJNSE_14BatchModeKargsEEEENSt9enable_ifIXnt26kattr_no_packed_fp32_ops_vIT_EEvE4typeEDpT2_.uses_flat_scratch, 0
	.set _ZN7ck_tile6kentryINS_6gfx9_tELi2ENS_27FmhaFwdSplitKVCombineKernelINS_34BlockFmhaFwdSplitKVCombinePipelineINS_38BlockFmhaSplitKVCombinePipelineProblemIffDF16bLi256ELb0ELi32ENS_31TileFmhaFwdSplitKVCombineTraitsILb0ELb0ELb1ELb0ELi4ELin1EEEEENS_47BlockFmhaFwdSplitKVCombinePipelineDefaultPolicyEEENS_17Default2DEpilogueINS_24Default2DEpilogueProblemIfDF16bLb0ELb0ELb1EEEvEEEEJNSE_14BatchModeKargsEEEENSt9enable_ifIXnt26kattr_no_packed_fp32_ops_vIT_EEvE4typeEDpT2_.has_dyn_sized_stack, 0
	.set _ZN7ck_tile6kentryINS_6gfx9_tELi2ENS_27FmhaFwdSplitKVCombineKernelINS_34BlockFmhaFwdSplitKVCombinePipelineINS_38BlockFmhaSplitKVCombinePipelineProblemIffDF16bLi256ELb0ELi32ENS_31TileFmhaFwdSplitKVCombineTraitsILb0ELb0ELb1ELb0ELi4ELin1EEEEENS_47BlockFmhaFwdSplitKVCombinePipelineDefaultPolicyEEENS_17Default2DEpilogueINS_24Default2DEpilogueProblemIfDF16bLb0ELb0ELb1EEEvEEEEJNSE_14BatchModeKargsEEEENSt9enable_ifIXnt26kattr_no_packed_fp32_ops_vIT_EEvE4typeEDpT2_.has_recursion, 0
	.set _ZN7ck_tile6kentryINS_6gfx9_tELi2ENS_27FmhaFwdSplitKVCombineKernelINS_34BlockFmhaFwdSplitKVCombinePipelineINS_38BlockFmhaSplitKVCombinePipelineProblemIffDF16bLi256ELb0ELi32ENS_31TileFmhaFwdSplitKVCombineTraitsILb0ELb0ELb1ELb0ELi4ELin1EEEEENS_47BlockFmhaFwdSplitKVCombinePipelineDefaultPolicyEEENS_17Default2DEpilogueINS_24Default2DEpilogueProblemIfDF16bLb0ELb0ELb1EEEvEEEEJNSE_14BatchModeKargsEEEENSt9enable_ifIXnt26kattr_no_packed_fp32_ops_vIT_EEvE4typeEDpT2_.has_indirect_call, 0
	.section	.AMDGPU.csdata,"",@progbits
; Kernel info:
; codeLenInByte = 3540
; TotalNumSgprs: 58
; NumVgprs: 22
; NumAgprs: 0
; TotalNumVgprs: 22
; ScratchSize: 0
; MemoryBound: 0
; FloatMode: 192
; IeeeMode: 1
; LDSByteSize: 4748 bytes/workgroup (compile time only)
; SGPRBlocks: 7
; VGPRBlocks: 2
; NumSGPRsForWavesPerEU: 58
; NumVGPRsForWavesPerEU: 22
; AccumOffset: 24
; Occupancy: 8
; WaveLimiterHint : 0
; COMPUTE_PGM_RSRC2:SCRATCH_EN: 0
; COMPUTE_PGM_RSRC2:USER_SGPR: 2
; COMPUTE_PGM_RSRC2:TRAP_HANDLER: 0
; COMPUTE_PGM_RSRC2:TGID_X_EN: 1
; COMPUTE_PGM_RSRC2:TGID_Y_EN: 1
; COMPUTE_PGM_RSRC2:TGID_Z_EN: 1
; COMPUTE_PGM_RSRC2:TIDIG_COMP_CNT: 0
; COMPUTE_PGM_RSRC3_GFX90A:ACCUM_OFFSET: 5
; COMPUTE_PGM_RSRC3_GFX90A:TG_SPLIT: 0
	.section	.text._ZN7ck_tile6kentryINS_6gfx9_tELi2ENS_27FmhaFwdSplitKVCombineKernelINS_34BlockFmhaFwdSplitKVCombinePipelineINS_38BlockFmhaSplitKVCombinePipelineProblemIffDF16bLi256ELb0ELi32ENS_31TileFmhaFwdSplitKVCombineTraitsILb0ELb0ELb1ELb0ELi5ELin1EEEEENS_47BlockFmhaFwdSplitKVCombinePipelineDefaultPolicyEEENS_17Default2DEpilogueINS_24Default2DEpilogueProblemIfDF16bLb0ELb0ELb1EEEvEEEEJNSE_14BatchModeKargsEEEENSt9enable_ifIXnt26kattr_no_packed_fp32_ops_vIT_EEvE4typeEDpT2_,"axG",@progbits,_ZN7ck_tile6kentryINS_6gfx9_tELi2ENS_27FmhaFwdSplitKVCombineKernelINS_34BlockFmhaFwdSplitKVCombinePipelineINS_38BlockFmhaSplitKVCombinePipelineProblemIffDF16bLi256ELb0ELi32ENS_31TileFmhaFwdSplitKVCombineTraitsILb0ELb0ELb1ELb0ELi5ELin1EEEEENS_47BlockFmhaFwdSplitKVCombinePipelineDefaultPolicyEEENS_17Default2DEpilogueINS_24Default2DEpilogueProblemIfDF16bLb0ELb0ELb1EEEvEEEEJNSE_14BatchModeKargsEEEENSt9enable_ifIXnt26kattr_no_packed_fp32_ops_vIT_EEvE4typeEDpT2_,comdat
	.protected	_ZN7ck_tile6kentryINS_6gfx9_tELi2ENS_27FmhaFwdSplitKVCombineKernelINS_34BlockFmhaFwdSplitKVCombinePipelineINS_38BlockFmhaSplitKVCombinePipelineProblemIffDF16bLi256ELb0ELi32ENS_31TileFmhaFwdSplitKVCombineTraitsILb0ELb0ELb1ELb0ELi5ELin1EEEEENS_47BlockFmhaFwdSplitKVCombinePipelineDefaultPolicyEEENS_17Default2DEpilogueINS_24Default2DEpilogueProblemIfDF16bLb0ELb0ELb1EEEvEEEEJNSE_14BatchModeKargsEEEENSt9enable_ifIXnt26kattr_no_packed_fp32_ops_vIT_EEvE4typeEDpT2_ ; -- Begin function _ZN7ck_tile6kentryINS_6gfx9_tELi2ENS_27FmhaFwdSplitKVCombineKernelINS_34BlockFmhaFwdSplitKVCombinePipelineINS_38BlockFmhaSplitKVCombinePipelineProblemIffDF16bLi256ELb0ELi32ENS_31TileFmhaFwdSplitKVCombineTraitsILb0ELb0ELb1ELb0ELi5ELin1EEEEENS_47BlockFmhaFwdSplitKVCombinePipelineDefaultPolicyEEENS_17Default2DEpilogueINS_24Default2DEpilogueProblemIfDF16bLb0ELb0ELb1EEEvEEEEJNSE_14BatchModeKargsEEEENSt9enable_ifIXnt26kattr_no_packed_fp32_ops_vIT_EEvE4typeEDpT2_
	.globl	_ZN7ck_tile6kentryINS_6gfx9_tELi2ENS_27FmhaFwdSplitKVCombineKernelINS_34BlockFmhaFwdSplitKVCombinePipelineINS_38BlockFmhaSplitKVCombinePipelineProblemIffDF16bLi256ELb0ELi32ENS_31TileFmhaFwdSplitKVCombineTraitsILb0ELb0ELb1ELb0ELi5ELin1EEEEENS_47BlockFmhaFwdSplitKVCombinePipelineDefaultPolicyEEENS_17Default2DEpilogueINS_24Default2DEpilogueProblemIfDF16bLb0ELb0ELb1EEEvEEEEJNSE_14BatchModeKargsEEEENSt9enable_ifIXnt26kattr_no_packed_fp32_ops_vIT_EEvE4typeEDpT2_
	.p2align	8
	.type	_ZN7ck_tile6kentryINS_6gfx9_tELi2ENS_27FmhaFwdSplitKVCombineKernelINS_34BlockFmhaFwdSplitKVCombinePipelineINS_38BlockFmhaSplitKVCombinePipelineProblemIffDF16bLi256ELb0ELi32ENS_31TileFmhaFwdSplitKVCombineTraitsILb0ELb0ELb1ELb0ELi5ELin1EEEEENS_47BlockFmhaFwdSplitKVCombinePipelineDefaultPolicyEEENS_17Default2DEpilogueINS_24Default2DEpilogueProblemIfDF16bLb0ELb0ELb1EEEvEEEEJNSE_14BatchModeKargsEEEENSt9enable_ifIXnt26kattr_no_packed_fp32_ops_vIT_EEvE4typeEDpT2_,@function
_ZN7ck_tile6kentryINS_6gfx9_tELi2ENS_27FmhaFwdSplitKVCombineKernelINS_34BlockFmhaFwdSplitKVCombinePipelineINS_38BlockFmhaSplitKVCombinePipelineProblemIffDF16bLi256ELb0ELi32ENS_31TileFmhaFwdSplitKVCombineTraitsILb0ELb0ELb1ELb0ELi5ELin1EEEEENS_47BlockFmhaFwdSplitKVCombinePipelineDefaultPolicyEEENS_17Default2DEpilogueINS_24Default2DEpilogueProblemIfDF16bLb0ELb0ELb1EEEvEEEEJNSE_14BatchModeKargsEEEENSt9enable_ifIXnt26kattr_no_packed_fp32_ops_vIT_EEvE4typeEDpT2_: ; @_ZN7ck_tile6kentryINS_6gfx9_tELi2ENS_27FmhaFwdSplitKVCombineKernelINS_34BlockFmhaFwdSplitKVCombinePipelineINS_38BlockFmhaSplitKVCombinePipelineProblemIffDF16bLi256ELb0ELi32ENS_31TileFmhaFwdSplitKVCombineTraitsILb0ELb0ELb1ELb0ELi5ELin1EEEEENS_47BlockFmhaFwdSplitKVCombinePipelineDefaultPolicyEEENS_17Default2DEpilogueINS_24Default2DEpilogueProblemIfDF16bLb0ELb0ELb1EEEvEEEEJNSE_14BatchModeKargsEEEENSt9enable_ifIXnt26kattr_no_packed_fp32_ops_vIT_EEvE4typeEDpT2_
; %bb.0:
	s_load_dwordx8 s[12:19], s[0:1], 0x1c
	s_load_dwordx4 s[20:23], s[0:1], 0x0
	s_load_dwordx2 s[28:29], s[0:1], 0x10
	s_load_dwordx2 s[30:31], s[0:1], 0x3c
	;; [unrolled: 1-line block ×3, first 2 shown]
	s_mov_b32 s45, -1
	s_waitcnt lgkmcnt(0)
	s_add_i32 s5, s13, 31
	s_ashr_i32 s6, s5, 31
	s_lshr_b32 s6, s6, 27
	s_add_i32 s5, s5, s6
	s_ashr_i32 s6, s5, 5
	s_abs_i32 s7, s6
	v_cvt_f32_u32_e32 v1, s7
	s_sub_i32 s8, 0, s7
	s_load_dword s5, s[0:1], 0x60
	s_load_dwordx4 s[24:27], s[0:1], 0x50
	s_abs_i32 s1, s2
	v_rcp_iflag_f32_e32 v1, v1
	s_xor_b32 s0, s2, s6
	s_ashr_i32 s0, s0, 31
	v_mul_f32_e32 v1, 0x4f7ffffe, v1
	v_cvt_u32_f32_e32 v1, v1
	s_nop 0
	v_readfirstlane_b32 s9, v1
	s_mul_i32 s8, s8, s9
	s_mul_hi_u32 s8, s9, s8
	s_add_i32 s9, s9, s8
	s_mul_hi_u32 s8, s1, s9
	s_mul_i32 s9, s8, s7
	s_sub_i32 s1, s1, s9
	s_add_i32 s9, s8, 1
	s_sub_i32 s10, s1, s7
	s_cmp_ge_u32 s1, s7
	s_cselect_b32 s8, s9, s8
	s_cselect_b32 s1, s10, s1
	s_add_i32 s9, s8, 1
	s_cmp_ge_u32 s1, s7
	s_cselect_b32 s1, s9, s8
	s_xor_b32 s1, s1, s0
	s_sub_i32 s47, s1, s0
	s_add_i32 s49, s14, 3
	s_getpc_b64 s[0:1]
	s_add_u32 s0, s0, _ZN7ck_tile34BlockFmhaFwdSplitKVCombinePipelineINS_38BlockFmhaSplitKVCombinePipelineProblemIffDF16bLi256ELb0ELi32ENS_31TileFmhaFwdSplitKVCombineTraitsILb0ELb0ELb1ELb0ELi5ELin1EEEEENS_47BlockFmhaFwdSplitKVCombinePipelineDefaultPolicyEE3kM0E@rel32@lo+4
	s_addc_u32 s1, s1, _ZN7ck_tile34BlockFmhaFwdSplitKVCombinePipelineINS_38BlockFmhaSplitKVCombinePipelineProblemIffDF16bLi256ELb0ELi32ENS_31TileFmhaFwdSplitKVCombineTraitsILb0ELb0ELb1ELb0ELi5ELin1EEEEENS_47BlockFmhaFwdSplitKVCombinePipelineDefaultPolicyEE3kM0E@rel32@hi+12
	s_load_dword s33, s[0:1], 0x0
	s_ashr_i32 s0, s49, 31
	s_lshr_b32 s0, s0, 30
	s_add_i32 s0, s49, s0
	s_mul_i32 s50, s47, s6
	s_ashr_i32 s48, s0, 2
	s_and_b32 s44, s0, -4
.LBB3_1:                                ; =>This Inner Loop Header: Depth=1
	s_add_i32 s45, s45, 1
	s_lshl_b32 s0, 1, s45
	s_cmp_lt_u32 s0, s44
	s_cbranch_scc1 .LBB3_1
; %bb.2:
	s_mov_b32 s46, -1
.LBB3_3:                                ; =>This Inner Loop Header: Depth=1
	s_add_i32 s46, s46, 1
	s_lshl_b32 s0, 1, s46
	s_waitcnt lgkmcnt(0)
	s_cmp_lt_u32 s0, s33
	s_cbranch_scc1 .LBB3_3
; %bb.4:
	s_lshl_b64 s[0:1], 1, s45
	s_mov_b32 s6, 0
	s_sub_i32 s7, s0, s44
	s_cmp_lg_u64 s[6:7], 0
	s_cbranch_scc0 .LBB3_51
; %bb.5:
	v_cvt_f32_u32_e32 v1, s44
	v_mov_b32_e32 v2, 0x4f800000
	s_sub_u32 s6, 0, s44
	s_subb_u32 s10, 0, 0
	v_fmac_f32_e32 v1, 0, v2
	v_rcp_f32_e32 v1, v1
	s_nop 0
	v_mul_f32_e32 v1, 0x5f7ffffc, v1
	v_mul_f32_e32 v2, 0x2f800000, v1
	v_trunc_f32_e32 v2, v2
	v_fmamk_f32 v1, v2, 0xcf800000, v1
	v_cvt_u32_f32_e32 v2, v2
	v_cvt_u32_f32_e32 v1, v1
	v_readfirstlane_b32 s11, v2
	v_readfirstlane_b32 s8, v1
	s_mul_i32 s9, s6, s11
	s_mul_hi_u32 s37, s6, s8
	s_mul_i32 s36, s10, s8
	s_add_i32 s9, s37, s9
	s_add_i32 s9, s9, s36
	s_mul_i32 s38, s6, s8
	s_mul_i32 s37, s8, s9
	s_mul_hi_u32 s39, s8, s38
	s_mul_hi_u32 s36, s8, s9
	s_add_u32 s37, s39, s37
	s_addc_u32 s36, 0, s36
	s_mul_hi_u32 s40, s11, s38
	s_mul_i32 s38, s11, s38
	s_add_u32 s37, s37, s38
	s_mul_hi_u32 s39, s11, s9
	s_addc_u32 s36, s36, s40
	s_addc_u32 s37, s39, 0
	s_mul_i32 s9, s11, s9
	s_add_u32 s9, s36, s9
	s_addc_u32 s36, 0, s37
	s_add_u32 s37, s8, s9
	s_cselect_b64 s[8:9], -1, 0
	s_cmp_lg_u64 s[8:9], 0
	s_addc_u32 s11, s11, s36
	s_mul_i32 s8, s6, s11
	s_mul_hi_u32 s9, s6, s37
	s_add_i32 s8, s9, s8
	s_mul_i32 s10, s10, s37
	s_add_i32 s8, s8, s10
	s_mul_i32 s6, s6, s37
	s_mul_hi_u32 s10, s11, s6
	s_mul_i32 s36, s11, s6
	s_mul_i32 s39, s37, s8
	s_mul_hi_u32 s6, s37, s6
	s_mul_hi_u32 s38, s37, s8
	s_add_u32 s6, s6, s39
	s_addc_u32 s38, 0, s38
	s_add_u32 s6, s6, s36
	s_mul_hi_u32 s9, s11, s8
	s_addc_u32 s6, s38, s10
	s_addc_u32 s9, s9, 0
	s_mul_i32 s8, s11, s8
	s_add_u32 s6, s6, s8
	s_addc_u32 s10, 0, s9
	s_add_u32 s6, s37, s6
	s_cselect_b64 s[8:9], -1, 0
	s_cmp_lg_u64 s[8:9], 0
	s_addc_u32 s8, s11, s10
	s_mul_i32 s10, s8, 0
	s_mul_hi_u32 s11, 0, s6
	s_mul_hi_u32 s9, 0, s8
	s_add_u32 s10, s11, s10
	s_addc_u32 s9, 0, s9
	s_mul_hi_u32 s36, s7, s6
	s_mul_i32 s6, s7, s6
	s_add_u32 s6, s10, s6
	s_mul_hi_u32 s11, s7, s8
	s_addc_u32 s6, s9, s36
	s_addc_u32 s9, s11, 0
	s_mul_i32 s8, s7, s8
	s_add_u32 s10, s6, s8
	s_addc_u32 s6, 0, s9
	s_mul_i32 s6, s44, s6
	s_mul_hi_u32 s8, s44, s10
	s_add_u32 s11, s10, 1
	s_add_u32 s36, s10, 2
	s_add_i32 s6, s8, s6
	s_mul_i32 s8, s44, s10
	s_sub_u32 s37, 0, s8
	s_cselect_b64 s[8:9], -1, 0
	s_cmp_lg_u64 s[8:9], 0
	s_subb_u32 s8, s7, s6
	s_sub_u32 s9, s37, s44
	s_cselect_b64 s[6:7], -1, 0
	s_cmp_lg_u64 s[6:7], 0
	s_subb_u32 s6, s8, 0
	s_cmp_ge_u32 s9, s44
	s_cselect_b32 s7, -1, 0
	s_cmp_eq_u32 s6, 0
	s_cselect_b32 s6, s7, -1
	s_cmp_lg_u32 s6, 0
	s_cselect_b32 s6, s36, s11
	s_cmp_ge_u32 s37, s44
	s_cselect_b32 s7, -1, 0
	s_cmp_eq_u32 s8, 0
	s_cselect_b32 s7, s7, -1
	s_cmp_lg_u32 s7, 0
	s_cselect_b32 s36, s6, s10
	s_cbranch_execnz .LBB3_7
.LBB3_6:
	v_cvt_f32_u32_e32 v1, s44
	s_sub_i32 s0, 0, s44
	v_rcp_iflag_f32_e32 v1, v1
	s_nop 0
	v_mul_f32_e32 v1, 0x4f7ffffe, v1
	v_cvt_u32_f32_e32 v1, v1
	s_nop 0
	v_readfirstlane_b32 s1, v1
	s_mul_i32 s0, s0, s1
	s_mul_hi_u32 s0, s1, s0
	s_add_i32 s1, s1, s0
	s_mul_hi_u32 s0, 0, s1
	s_mul_i32 s6, s0, s44
	s_sub_i32 s6, 0, s6
	s_add_i32 s1, s0, 1
	s_sub_i32 s7, s6, s44
	s_cmp_ge_u32 s6, s44
	s_cselect_b32 s0, s1, s0
	s_cselect_b32 s6, s7, s6
	s_add_i32 s1, s0, 1
	s_cmp_ge_u32 s6, s44
	s_cselect_b32 s36, s1, s0
.LBB3_7:
	s_lshl_b64 s[0:1], 1, s46
	s_mov_b32 s6, 0
	s_sub_i32 s7, s0, s33
	s_cmp_lg_u64 s[6:7], 0
	s_cbranch_scc0 .LBB3_52
; %bb.8:
	v_cvt_f32_u32_e32 v1, s33
	v_mov_b32_e32 v2, 0x4f800000
	s_sub_u32 s6, 0, s33
	s_subb_u32 s10, 0, 0
	v_fmac_f32_e32 v1, 0, v2
	v_rcp_f32_e32 v1, v1
	s_nop 0
	v_mul_f32_e32 v1, 0x5f7ffffc, v1
	v_mul_f32_e32 v2, 0x2f800000, v1
	v_trunc_f32_e32 v2, v2
	v_fmamk_f32 v1, v2, 0xcf800000, v1
	v_cvt_u32_f32_e32 v2, v2
	v_cvt_u32_f32_e32 v1, v1
	v_readfirstlane_b32 s11, v2
	v_readfirstlane_b32 s8, v1
	s_mul_i32 s9, s6, s11
	s_mul_hi_u32 s38, s6, s8
	s_mul_i32 s37, s10, s8
	s_add_i32 s9, s38, s9
	s_add_i32 s9, s9, s37
	s_mul_i32 s39, s6, s8
	s_mul_i32 s38, s8, s9
	s_mul_hi_u32 s40, s8, s39
	s_mul_hi_u32 s37, s8, s9
	s_add_u32 s38, s40, s38
	s_addc_u32 s37, 0, s37
	s_mul_hi_u32 s41, s11, s39
	s_mul_i32 s39, s11, s39
	s_add_u32 s38, s38, s39
	s_mul_hi_u32 s40, s11, s9
	s_addc_u32 s37, s37, s41
	s_addc_u32 s38, s40, 0
	s_mul_i32 s9, s11, s9
	s_add_u32 s9, s37, s9
	s_addc_u32 s37, 0, s38
	s_add_u32 s38, s8, s9
	s_cselect_b64 s[8:9], -1, 0
	s_cmp_lg_u64 s[8:9], 0
	s_addc_u32 s11, s11, s37
	s_mul_i32 s8, s6, s11
	s_mul_hi_u32 s9, s6, s38
	s_add_i32 s8, s9, s8
	s_mul_i32 s10, s10, s38
	s_add_i32 s8, s8, s10
	s_mul_i32 s6, s6, s38
	s_mul_hi_u32 s10, s11, s6
	s_mul_i32 s37, s11, s6
	s_mul_i32 s40, s38, s8
	s_mul_hi_u32 s6, s38, s6
	s_mul_hi_u32 s39, s38, s8
	s_add_u32 s6, s6, s40
	s_addc_u32 s39, 0, s39
	s_add_u32 s6, s6, s37
	s_mul_hi_u32 s9, s11, s8
	s_addc_u32 s6, s39, s10
	s_addc_u32 s9, s9, 0
	s_mul_i32 s8, s11, s8
	s_add_u32 s6, s6, s8
	s_addc_u32 s10, 0, s9
	s_add_u32 s6, s38, s6
	s_cselect_b64 s[8:9], -1, 0
	s_cmp_lg_u64 s[8:9], 0
	s_addc_u32 s8, s11, s10
	s_mul_i32 s10, s8, 0
	s_mul_hi_u32 s11, 0, s6
	s_mul_hi_u32 s9, 0, s8
	s_add_u32 s10, s11, s10
	s_addc_u32 s9, 0, s9
	s_mul_hi_u32 s37, s7, s6
	s_mul_i32 s6, s7, s6
	s_add_u32 s6, s10, s6
	s_mul_hi_u32 s11, s7, s8
	s_addc_u32 s6, s9, s37
	s_addc_u32 s9, s11, 0
	s_mul_i32 s8, s7, s8
	s_add_u32 s10, s6, s8
	s_addc_u32 s6, 0, s9
	s_mul_i32 s6, s33, s6
	s_mul_hi_u32 s8, s33, s10
	s_add_u32 s11, s10, 1
	s_add_u32 s37, s10, 2
	s_add_i32 s6, s8, s6
	s_mul_i32 s8, s33, s10
	s_sub_u32 s38, 0, s8
	s_cselect_b64 s[8:9], -1, 0
	s_cmp_lg_u64 s[8:9], 0
	s_subb_u32 s8, s7, s6
	s_sub_u32 s9, s38, s33
	s_cselect_b64 s[6:7], -1, 0
	s_cmp_lg_u64 s[6:7], 0
	s_subb_u32 s6, s8, 0
	s_cmp_ge_u32 s9, s33
	s_cselect_b32 s7, -1, 0
	s_cmp_eq_u32 s6, 0
	s_cselect_b32 s6, s7, -1
	s_cmp_lg_u32 s6, 0
	s_cselect_b32 s6, s37, s11
	s_cmp_ge_u32 s38, s33
	s_cselect_b32 s7, -1, 0
	s_cmp_eq_u32 s8, 0
	s_cselect_b32 s7, s7, -1
	s_cmp_lg_u32 s7, 0
	s_cselect_b32 s38, s6, s10
	s_cbranch_execnz .LBB3_10
.LBB3_9:
	v_cvt_f32_u32_e32 v1, s33
	s_sub_i32 s0, 0, s33
	v_rcp_iflag_f32_e32 v1, v1
	s_nop 0
	v_mul_f32_e32 v1, 0x4f7ffffe, v1
	v_cvt_u32_f32_e32 v1, v1
	s_nop 0
	v_readfirstlane_b32 s1, v1
	s_mul_i32 s0, s0, s1
	s_mul_hi_u32 s0, s1, s0
	s_add_i32 s1, s1, s0
	s_mul_hi_u32 s0, 0, s1
	s_mul_i32 s6, s0, s33
	s_sub_i32 s6, 0, s6
	s_add_i32 s1, s0, 1
	s_sub_i32 s7, s6, s33
	s_cmp_ge_u32 s6, s33
	s_cselect_b32 s0, s1, s0
	s_cselect_b32 s6, s7, s6
	s_add_i32 s1, s0, 1
	s_cmp_ge_u32 s6, s33
	s_cselect_b32 s38, s1, s0
.LBB3_10:
	v_readfirstlane_b32 s0, v0
	v_mbcnt_lo_u32_b32 v1, -1, 0
	v_mbcnt_hi_u32_b32 v1, -1, v1
	s_lshr_b32 s0, s0, 3
	v_lshrrev_b32_e32 v7, 3, v1
	s_and_b32 s0, s0, 24
	s_lshl_b32 s37, s47, 3
	v_and_b32_e32 v6, 7, v1
	v_add_u32_e32 v3, s0, v7
	s_add_i32 s39, s14, -1
	v_cmp_gt_i32_e32 vcc, s14, v3
	v_mov_b32_e32 v4, 0
	v_or_b32_e32 v2, s37, v6
	s_and_saveexec_b64 s[0:1], vcc
	s_cbranch_execz .LBB3_12
; %bb.11:
	s_mul_hi_i32 s9, s17, s3
	s_mul_i32 s8, s17, s3
	s_lshl_b64 s[8:9], s[8:9], 2
	s_mul_hi_i32 s7, s26, s4
	s_mul_i32 s6, s26, s4
	s_add_u32 s8, s20, s8
	s_addc_u32 s9, s21, s9
	s_lshl_b64 s[6:7], s[6:7], 2
	s_add_u32 s8, s8, s6
	s_mul_i32 s6, s30, s39
	s_addc_u32 s9, s9, s7
	s_add_i32 s6, s6, s12
	v_mul_lo_u32 v3, v3, s30
	v_add_lshl_u32 v3, v2, v3, 2
	s_lshl_b32 s10, s6, 2
	s_mov_b32 s11, 0x20000
	buffer_load_dword v4, v3, s[8:11], 0 offen
.LBB3_12:
	s_or_b64 exec, exec, s[0:1]
	v_readfirstlane_b32 s0, v0
	v_mul_u32_u24_e32 v3, 33, v6
	s_lshr_b32 s0, s0, 1
	v_lshlrev_b32_e32 v3, 2, v3
	v_lshlrev_b32_e32 v5, 2, v7
	s_and_b32 s0, s0, 0x60
	v_add3_u32 v5, v3, v5, s0
	s_waitcnt vmcnt(0)
	ds_write_b32 v5, v4
	; sched_barrier mask(0x00000000)
	v_lshrrev_b32_e32 v4, 1, v1
	v_and_b32_e32 v5, 60, v4
	v_cmp_gt_i32_e32 vcc, s14, v5
	v_mov_b32_e32 v10, 0xff800000
	v_mov_b32_e32 v13, 0xff800000
	s_waitcnt lgkmcnt(0)
	s_barrier
	s_and_saveexec_b64 s[0:1], vcc
; %bb.13:
	v_lshl_add_u32 v8, v5, 2, v3
	ds_read_b32 v13, v8
; %bb.14:
	s_or_b64 exec, exec, s[0:1]
	v_or_b32_e32 v8, 1, v5
	v_cmp_gt_i32_e64 s[0:1], s14, v8
	s_and_saveexec_b64 s[6:7], s[0:1]
; %bb.15:
	v_lshl_add_u32 v8, v5, 2, v3
	ds_read_b32 v10, v8 offset:4
; %bb.16:
	s_or_b64 exec, exec, s[6:7]
	v_or_b32_e32 v8, 2, v5
	v_cmp_gt_i32_e64 s[8:9], s14, v8
	v_mov_b32_e32 v8, 0xff800000
	v_mov_b32_e32 v11, 0xff800000
	s_and_saveexec_b64 s[6:7], s[8:9]
; %bb.17:
	v_lshl_add_u32 v9, v5, 2, v3
	ds_read_b32 v11, v9 offset:8
; %bb.18:
	s_or_b64 exec, exec, s[6:7]
	v_or_b32_e32 v4, 3, v4
	v_cmp_gt_i32_e64 s[6:7], s14, v4
	s_and_saveexec_b64 s[10:11], s[6:7]
; %bb.19:
	v_lshl_add_u32 v8, v4, 2, v3
	ds_read_b32 v8, v8
; %bb.20:
	s_or_b64 exec, exec, s[10:11]
	s_mov_b32 s17, 0xff800000
	s_waitcnt lgkmcnt(0)
	v_max3_f32 v9, v13, s17, v10
	v_max3_f32 v12, v9, v11, v8
	v_lshlrev_b32_e32 v9, 2, v1
	ds_bpermute_b32 v14, v9, v12 offset:128
	v_add_u32_e32 v16, 0x80, v9
	v_add_u32_e32 v15, 64, v9
	s_waitcnt lgkmcnt(0)
	v_max_f32_e32 v14, v14, v14
	v_max_f32_e32 v12, v12, v14
	ds_bpermute_b32 v14, v9, v12 offset:64
	s_waitcnt lgkmcnt(0)
	v_max_f32_e32 v14, v14, v14
	v_max_f32_e32 v12, v12, v14
	ds_bpermute_b32 v17, v9, v12 offset:32
	v_add_u32_e32 v14, 32, v9
	s_waitcnt lgkmcnt(0)
	v_max_f32_e32 v17, v17, v17
	v_max_f32_e32 v12, v12, v17
	v_cmp_neq_f32_e64 s[10:11], s17, v12
	v_mov_b32_e32 v17, 0
	s_and_saveexec_b64 s[20:21], s[10:11]
	s_cbranch_execz .LBB3_22
; %bb.21:
	v_sub_f32_e32 v17, v13, v12
	s_mov_b32 s26, 0x3fb8aa3b
	v_mul_f32_e32 v18, 0x3fb8aa3b, v17
	v_fma_f32 v19, v17, s26, -v18
	v_rndne_f32_e32 v20, v18
	v_fmac_f32_e32 v19, 0x32a5705f, v17
	v_sub_f32_e32 v18, v18, v20
	v_add_f32_e32 v18, v18, v19
	v_exp_f32_e32 v18, v18
	v_cvt_i32_f32_e32 v19, v20
	s_mov_b32 s30, 0xc2ce8ed0
	v_cmp_ngt_f32_e64 s[10:11], s30, v17
	s_mov_b32 s40, 0x42b17218
	v_ldexp_f32 v18, v18, v19
	v_sub_f32_e32 v19, v10, v12
	v_mul_f32_e32 v20, 0x3fb8aa3b, v19
	v_fma_f32 v21, v19, s26, -v20
	v_rndne_f32_e32 v22, v20
	v_fmac_f32_e32 v21, 0x32a5705f, v19
	v_sub_f32_e32 v20, v20, v22
	v_add_f32_e32 v20, v20, v21
	v_exp_f32_e32 v20, v20
	v_cvt_i32_f32_e32 v21, v22
	v_cndmask_b32_e64 v18, 0, v18, s[10:11]
	v_mov_b32_e32 v22, 0x7f800000
	v_cmp_nlt_f32_e64 s[10:11], s40, v17
	s_nop 1
	v_cndmask_b32_e64 v17, v22, v18, s[10:11]
	v_ldexp_f32 v18, v20, v21
	v_sub_f32_e32 v20, v11, v12
	v_mul_f32_e32 v21, 0x3fb8aa3b, v20
	v_fma_f32 v23, v20, s26, -v21
	v_rndne_f32_e32 v24, v21
	v_fmac_f32_e32 v23, 0x32a5705f, v20
	v_sub_f32_e32 v21, v21, v24
	v_add_f32_e32 v21, v21, v23
	v_exp_f32_e32 v21, v21
	v_cvt_i32_f32_e32 v23, v24
	v_cmp_ngt_f32_e64 s[10:11], s30, v19
	s_nop 1
	v_cndmask_b32_e64 v18, 0, v18, s[10:11]
	v_cmp_nlt_f32_e64 s[10:11], s40, v19
	v_ldexp_f32 v19, v21, v23
	v_sub_f32_e32 v21, v8, v12
	v_mul_f32_e32 v23, 0x3fb8aa3b, v21
	v_fma_f32 v24, v21, s26, -v23
	v_rndne_f32_e32 v25, v23
	v_fmac_f32_e32 v24, 0x32a5705f, v21
	v_sub_f32_e32 v23, v23, v25
	v_add_f32_e32 v23, v23, v24
	v_exp_f32_e32 v23, v23
	v_cvt_i32_f32_e32 v24, v25
	v_cndmask_b32_e64 v18, v22, v18, s[10:11]
	v_cmp_ngt_f32_e64 s[10:11], s30, v20
	v_add_f32_e32 v17, v17, v18
	s_nop 0
	v_cndmask_b32_e64 v19, 0, v19, s[10:11]
	v_cmp_nlt_f32_e64 s[10:11], s40, v20
	v_ldexp_f32 v20, v23, v24
	s_nop 0
	v_cndmask_b32_e64 v19, v22, v19, s[10:11]
	v_cmp_ngt_f32_e64 s[10:11], s30, v21
	v_add_f32_e32 v17, v19, v17
	s_nop 0
	v_cndmask_b32_e64 v20, 0, v20, s[10:11]
	v_cmp_nlt_f32_e64 s[10:11], s40, v21
	s_nop 1
	v_cndmask_b32_e64 v20, v22, v20, s[10:11]
	v_add_f32_e32 v17, v20, v17
.LBB3_22:
	s_or_b64 exec, exec, s[20:21]
	ds_bpermute_b32 v16, v16, v17
	s_mov_b32 s10, 0x3f317217
	s_mov_b32 s11, 0x7f800000
	s_mov_b64 s[40:41], 0
	s_waitcnt lgkmcnt(0)
	v_add_f32_e32 v16, v17, v16
	ds_bpermute_b32 v15, v15, v16
	s_barrier
	s_waitcnt lgkmcnt(0)
	v_add_f32_e32 v15, v16, v15
	ds_bpermute_b32 v14, v14, v15
	v_mov_b32_e32 v16, 0xff800000
	s_waitcnt lgkmcnt(0)
	v_add_f32_e32 v14, v15, v14
	v_log_f32_e32 v15, v14
	s_nop 0
	v_mul_f32_e32 v17, 0x3f317217, v15
	v_fma_f32 v17, v15, s10, -v17
	v_fmamk_f32 v17, v15, 0x3377d1cf, v17
	v_fmac_f32_e32 v17, 0x3f317217, v15
	v_cmp_lt_f32_e64 s[10:11], |v15|, s11
	s_nop 1
	v_cndmask_b32_e64 v15, v15, v17, s[10:11]
	v_add_f32_e32 v12, v12, v15
	v_cmp_neq_f32_e64 s[10:11], 0, v14
                                        ; implicit-def: $vgpr14
	s_nop 1
	v_cndmask_b32_e64 v12, v16, v12, s[10:11]
	v_cmp_neq_f32_e64 s[10:11], s17, v12
	s_and_saveexec_b64 s[20:21], s[10:11]
	s_xor_b64 s[20:21], exec, s[20:21]
	s_cbranch_execnz .LBB3_39
; %bb.23:
	s_andn2_saveexec_b64 s[10:11], s[20:21]
	s_cbranch_execnz .LBB3_46
.LBB3_24:
	s_or_b64 exec, exec, s[10:11]
	s_and_saveexec_b64 s[0:1], s[40:41]
.LBB3_25:
	v_lshl_add_u32 v3, v4, 2, v3
	ds_write_b32 v3, v14
.LBB3_26:
	s_or_b64 exec, exec, s[0:1]
	s_mul_hi_i32 s7, s24, s3
	s_mul_i32 s6, s24, s3
	s_lshl_b64 s[6:7], s[6:7], 2
	s_mul_hi_i32 s1, s25, s4
	s_mul_i32 s0, s25, s4
	s_add_u32 s6, s34, s6
	s_addc_u32 s7, s35, s7
	s_lshl_b64 s[0:1], s[0:1], 2
	s_add_u32 s8, s6, s0
	s_addc_u32 s9, s7, s1
	s_sub_i32 s0, s2, s50
	s_add_i32 s6, s12, -1
	s_lshl_b32 s2, s0, 5
	s_lshl_b32 s10, s12, 2
	s_mov_b32 s11, 0x20000
	v_lshlrev_b32_e32 v2, 2, v2
	s_mov_b32 s7, 0
	v_readfirstlane_b32 s0, v0
	buffer_store_dword v12, v2, s[8:11], 0 offen
	; sched_barrier mask(0x00000000)
	v_mov_b32_e32 v5, 0
	s_cmp_lt_i32 s49, 4
	v_mov_b32_e32 v4, v5
	v_mov_b32_e32 v3, v5
	;; [unrolled: 1-line block ×3, first 2 shown]
	s_waitcnt lgkmcnt(0)
	s_barrier
	s_cbranch_scc1 .LBB3_38
; %bb.27:
	s_mul_i32 s9, s15, s6
	s_mul_i32 s48, s48, s47
	s_mul_i32 s8, s31, s39
	s_add_i32 s9, s9, s13
	s_mul_hi_i32 s21, s18, s3
	s_mul_i32 s20, s18, s3
	s_add_i32 s12, s38, 1
	s_add_i32 s17, s36, 1
	s_lshl_b32 s1, s48, 5
	s_add_i32 s10, s9, s8
	s_lshl_b64 s[20:21], s[20:21], 2
	s_mul_hi_i32 s9, s27, s4
	s_mul_i32 s8, s27, s4
	s_add_u32 s18, s22, s20
	s_addc_u32 s20, s23, s21
	s_lshl_b64 s[8:9], s[8:9], 2
	s_add_u32 s8, s18, s8
	s_addc_u32 s9, s20, s9
	s_lshr_b32 s0, s0, 3
	s_and_b32 s0, s0, 0x1ffffff8
	s_add_i32 s0, s0, s1
	v_add_u32_e32 v14, s0, v7
	v_mul_hi_u32 v2, s12, v14
	v_add_u32_e32 v2, v14, v2
	v_lshrrev_b32_e32 v2, s46, v2
	v_mul_hi_u32 v3, s17, v2
	v_add_u32_e32 v3, v2, v3
	v_lshrrev_b32_e32 v17, s45, v3
	v_mul_lo_u32 v3, v17, s44
	v_sub_u32_e32 v19, v2, v3
	v_mul_lo_u32 v2, v2, s33
	v_sub_u32_e32 v8, v14, v2
	v_mad_u64_u32 v[2:3], s[0:1], v17, s33, v[8:9]
	v_lshl_or_b32 v4, v6, 2, s2
	v_mul_lo_u32 v5, v19, s31
	v_mul_lo_u32 v2, v2, s15
	v_add3_u32 v15, v4, v5, v2
	v_mov_b32_e32 v2, 0
	s_lshl_b32 s10, s10, 2
	v_mul_u32_u24_e32 v16, 0x84, v7
	v_add_u32_e32 v6, 32, v14
	s_sub_i32 s18, 0, s33
	v_mov_b32_e32 v18, v19
	v_mov_b32_e32 v3, v2
	;; [unrolled: 1-line block ×4, first 2 shown]
.LBB3_28:                               ; =>This Inner Loop Header: Depth=1
	v_cmp_gt_i32_e32 vcc, s14, v18
	v_lshlrev_b32_e32 v20, 2, v15
	v_mov_b32_e32 v10, 0
	s_and_saveexec_b64 s[0:1], vcc
	s_cbranch_execz .LBB3_30
; %bb.29:                               ;   in Loop: Header=BB3_28 Depth=1
	buffer_load_dword v10, v20, s[8:11], 0 offen
.LBB3_30:                               ;   in Loop: Header=BB3_28 Depth=1
	s_or_b64 exec, exec, s[0:1]
	v_mov_b32_e32 v12, 0
	v_mov_b32_e32 v11, 0
	s_and_saveexec_b64 s[0:1], vcc
	s_cbranch_execnz .LBB3_36
; %bb.31:                               ;   in Loop: Header=BB3_28 Depth=1
	s_or_b64 exec, exec, s[0:1]
	s_and_saveexec_b64 s[0:1], vcc
	s_cbranch_execnz .LBB3_37
.LBB3_32:                               ;   in Loop: Header=BB3_28 Depth=1
	s_or_b64 exec, exec, s[0:1]
	v_mov_b32_e32 v13, 0
	s_and_saveexec_b64 s[0:1], vcc
	s_cbranch_execz .LBB3_34
.LBB3_33:                               ;   in Loop: Header=BB3_28 Depth=1
	buffer_load_dword v13, v20, s[8:11], 0 offen offset:12
.LBB3_34:                               ;   in Loop: Header=BB3_28 Depth=1
	s_or_b64 exec, exec, s[0:1]
	v_readfirstlane_b32 s0, v0
	s_lshr_b32 s0, s0, 4
	s_and_b32 s0, s0, 0xffffffc
	v_add_u32_e32 v20, s0, v16
	ds_read_b32 v20, v20
	v_add_u32_e32 v14, 32, v14
	v_mul_hi_u32 v21, s12, v6
	v_add_u32_e32 v21, v14, v21
	s_add_i32 s7, s7, 4
	s_waitcnt vmcnt(0) lgkmcnt(0)
	v_pk_fma_f32 v[4:5], v[12:13], v[20:21], v[4:5] op_sel_hi:[1,0,1]
	v_lshrrev_b32_e32 v13, s46, v21
	v_pk_fma_f32 v[2:3], v[10:11], v[20:21], v[2:3] op_sel_hi:[1,0,1]
	v_mad_u64_u32 v[10:11], s[0:1], s18, v13, v[6:7]
	v_mul_hi_u32 v11, s17, v13
	v_add_u32_e32 v11, v13, v11
	v_lshrrev_b32_e32 v11, s45, v11
	v_mul_lo_u32 v12, v11, s44
	v_sub_u32_e32 v17, v11, v17
	v_sub_u32_e32 v12, v13, v12
	;; [unrolled: 1-line block ×3, first 2 shown]
	v_mul_lo_u32 v13, s33, v13
	v_sub_u32_e32 v8, v13, v8
	v_sub_u32_e32 v19, v12, v19
	v_add_u32_e32 v8, v6, v8
	v_mul_lo_u32 v13, v19, s31
	v_mul_lo_u32 v8, v8, s15
	v_add_u32_e32 v18, v19, v18
	v_add3_u32 v15, v13, v15, v8
	v_add_u32_e32 v16, 16, v16
	s_cmp_lt_i32 s7, s44
	v_add_u32_e32 v6, 32, v6
	s_cbranch_scc0 .LBB3_38
; %bb.35:                               ;   in Loop: Header=BB3_28 Depth=1
	v_mov_b32_e32 v8, v10
	v_mov_b32_e32 v17, v11
	;; [unrolled: 1-line block ×3, first 2 shown]
	s_branch .LBB3_28
.LBB3_36:                               ;   in Loop: Header=BB3_28 Depth=1
	buffer_load_dword v11, v20, s[8:11], 0 offen offset:4
	s_or_b64 exec, exec, s[0:1]
	s_and_saveexec_b64 s[0:1], vcc
	s_cbranch_execz .LBB3_32
.LBB3_37:                               ;   in Loop: Header=BB3_28 Depth=1
	buffer_load_dword v12, v20, s[8:11], 0 offen offset:8
	s_or_b64 exec, exec, s[0:1]
	v_mov_b32_e32 v13, 0
	s_and_saveexec_b64 s[0:1], vcc
	s_cbranch_execnz .LBB3_33
	s_branch .LBB3_34
.LBB3_38:
	v_readfirstlane_b32 s0, v0
	s_lshr_b32 s1, s0, 3
	s_and_b32 s1, s1, 0xffffff8
	v_and_b32_e32 v0, 28, v9
	v_add_lshl_u32 v6, s1, v7, 4
	s_movk_i32 s1, 0x84
	v_mad_u32_u24 v0, v0, s1, v6
	ds_write_b128 v0, v[2:5] offset:1052
	; sched_barrier mask(0x00000000)
	s_lshr_b32 s0, s0, 5
	s_and_b32 s0, s0, 0x7fffffe
	v_lshrrev_b32_e32 v0, 5, v1
	v_bfe_u32 v2, v1, 2, 3
	v_add_u32_e32 v0, s0, v0
	v_mul_u32_u24_e32 v2, 0x210, v2
	v_lshl_add_u32 v2, v0, 4, v2
	v_and_b32_e32 v3, 3, v1
	v_lshl_or_b32 v2, v3, 2, v2
	v_add_u32_e32 v4, 0x400, v2
	s_waitcnt lgkmcnt(0)
	s_barrier
	ds_read2_b32 v[2:3], v4 offset0:71 offset1:103
	ds_read2_b32 v[4:5], v4 offset0:7 offset1:39
	s_mul_i32 s0, s16, s6
	s_add_i32 s6, s0, s13
	s_mul_hi_i32 s1, s19, s3
	s_mul_i32 s0, s19, s3
	s_lshl_b64 s[0:1], s[0:1], 1
	s_add_u32 s3, s28, s0
	s_waitcnt lgkmcnt(0)
	v_add_f32_e32 v4, 0, v4
	s_addc_u32 s7, s29, s1
	s_mul_hi_i32 s1, s5, s4
	s_mul_i32 s0, s5, s4
	v_add_f32_e32 v4, v5, v4
	s_lshl_b64 s[0:1], s[0:1], 1
	v_add_f32_e32 v2, v2, v4
	v_add_u32_e32 v0, s37, v0
	s_add_u32 s0, s3, s0
	v_add_f32_e32 v2, v3, v2
	v_and_or_b32 v1, v1, 31, s2
	v_mul_lo_u32 v0, v0, s16
	s_addc_u32 s1, s7, s1
	v_cvt_pk_bf16_f32 v2, v2, s0
	s_lshl_b32 s2, s6, 1
	s_mov_b32 s3, 0x20000
	v_add_lshl_u32 v0, v1, v0, 1
	buffer_store_short v2, v0, s[0:3], 0 offen
	s_endpgm
.LBB3_39:
	s_and_saveexec_b64 s[40:41], vcc
	s_cbranch_execnz .LBB3_53
; %bb.40:
	s_or_b64 exec, exec, s[40:41]
	s_and_saveexec_b64 s[40:41], s[0:1]
	s_cbranch_execnz .LBB3_54
.LBB3_41:
	s_or_b64 exec, exec, s[40:41]
	s_and_saveexec_b64 s[40:41], s[8:9]
	s_cbranch_execz .LBB3_43
.LBB3_42:
	v_sub_f32_e32 v10, v11, v12
	s_mov_b32 s10, 0x3fb8aa3b
	v_mul_f32_e32 v11, 0x3fb8aa3b, v10
	v_fma_f32 v13, v10, s10, -v11
	v_rndne_f32_e32 v14, v11
	v_fmamk_f32 v13, v10, 0x32a5705f, v13
	v_sub_f32_e32 v11, v11, v14
	v_add_f32_e32 v11, v11, v13
	v_exp_f32_e32 v11, v11
	v_cvt_i32_f32_e32 v13, v14
	s_mov_b32 s10, 0xc2ce8ed0
	v_cmp_ngt_f32_e64 s[10:11], s10, v10
	v_lshl_add_u32 v5, v5, 2, v3
	v_ldexp_f32 v11, v11, v13
	v_cndmask_b32_e64 v11, 0, v11, s[10:11]
	s_mov_b32 s10, 0x42b17218
	v_mov_b32_e32 v13, 0x7f800000
	v_cmp_nlt_f32_e64 s[10:11], s10, v10
	s_nop 1
	v_cndmask_b32_e64 v10, v13, v11, s[10:11]
	ds_write_b32 v5, v10 offset:8
.LBB3_43:
	s_or_b64 exec, exec, s[40:41]
	s_mov_b64 s[40:41], 0
                                        ; implicit-def: $vgpr14
	s_and_saveexec_b64 s[10:11], s[6:7]
	s_xor_b64 s[42:43], exec, s[10:11]
	s_cbranch_execz .LBB3_45
; %bb.44:
	v_sub_f32_e32 v5, v8, v12
	s_mov_b32 s10, 0x3fb8aa3b
	v_mul_f32_e32 v8, 0x3fb8aa3b, v5
	v_fma_f32 v10, v5, s10, -v8
	v_rndne_f32_e32 v11, v8
	v_fmamk_f32 v10, v5, 0x32a5705f, v10
	v_sub_f32_e32 v8, v8, v11
	v_add_f32_e32 v8, v8, v10
	v_exp_f32_e32 v8, v8
	v_cvt_i32_f32_e32 v10, v11
	s_mov_b32 s10, 0xc2ce8ed0
	v_cmp_ngt_f32_e64 s[10:11], s10, v5
	s_mov_b64 s[40:41], exec
	v_ldexp_f32 v8, v8, v10
	v_cndmask_b32_e64 v8, 0, v8, s[10:11]
	s_mov_b32 s10, 0x42b17218
	v_mov_b32_e32 v10, 0x7f800000
	v_cmp_nlt_f32_e64 s[10:11], s10, v5
	s_nop 1
	v_cndmask_b32_e64 v14, v10, v8, s[10:11]
.LBB3_45:
	s_or_b64 exec, exec, s[42:43]
	s_and_b64 s[40:41], s[40:41], exec
                                        ; implicit-def: $vgpr5
	s_andn2_saveexec_b64 s[10:11], s[20:21]
	s_cbranch_execz .LBB3_24
.LBB3_46:
	s_and_saveexec_b64 s[20:21], vcc
	s_cbranch_execnz .LBB3_55
; %bb.47:
	s_or_b64 exec, exec, s[20:21]
	s_and_saveexec_b64 s[20:21], s[0:1]
	s_cbranch_execnz .LBB3_56
.LBB3_48:
	s_or_b64 exec, exec, s[20:21]
	s_and_saveexec_b64 s[0:1], s[8:9]
.LBB3_49:
	v_lshl_add_u32 v5, v5, 2, v3
	v_mov_b32_e32 v8, 0
	ds_write_b32 v5, v8 offset:8
.LBB3_50:
	s_or_b64 exec, exec, s[0:1]
	s_andn2_b64 s[0:1], s[40:41], exec
	s_and_b64 s[6:7], s[6:7], exec
	v_mov_b32_e32 v14, 0
	s_or_b64 s[40:41], s[0:1], s[6:7]
	s_or_b64 exec, exec, s[10:11]
	s_and_saveexec_b64 s[0:1], s[40:41]
	s_cbranch_execnz .LBB3_25
	s_branch .LBB3_26
.LBB3_51:
                                        ; implicit-def: $sgpr36_sgpr37
	s_branch .LBB3_6
.LBB3_52:
                                        ; implicit-def: $sgpr38_sgpr39
	s_branch .LBB3_9
.LBB3_53:
	v_sub_f32_e32 v13, v13, v12
	s_mov_b32 s10, 0x3fb8aa3b
	v_mul_f32_e32 v14, 0x3fb8aa3b, v13
	v_fma_f32 v15, v13, s10, -v14
	v_rndne_f32_e32 v16, v14
	v_fmamk_f32 v15, v13, 0x32a5705f, v15
	v_sub_f32_e32 v14, v14, v16
	v_add_f32_e32 v14, v14, v15
	v_exp_f32_e32 v14, v14
	v_cvt_i32_f32_e32 v15, v16
	s_mov_b32 s10, 0xc2ce8ed0
	v_cmp_ngt_f32_e64 s[10:11], s10, v13
	v_lshl_add_u32 v16, v5, 2, v3
	v_ldexp_f32 v14, v14, v15
	v_cndmask_b32_e64 v14, 0, v14, s[10:11]
	s_mov_b32 s10, 0x42b17218
	v_mov_b32_e32 v15, 0x7f800000
	v_cmp_nlt_f32_e64 s[10:11], s10, v13
	s_nop 1
	v_cndmask_b32_e64 v13, v15, v14, s[10:11]
	ds_write_b32 v16, v13
	s_or_b64 exec, exec, s[40:41]
	s_and_saveexec_b64 s[40:41], s[0:1]
	s_cbranch_execz .LBB3_41
.LBB3_54:
	v_sub_f32_e32 v10, v10, v12
	s_mov_b32 s10, 0x3fb8aa3b
	v_mul_f32_e32 v13, 0x3fb8aa3b, v10
	v_fma_f32 v14, v10, s10, -v13
	v_rndne_f32_e32 v15, v13
	v_fmamk_f32 v14, v10, 0x32a5705f, v14
	v_sub_f32_e32 v13, v13, v15
	v_add_f32_e32 v13, v13, v14
	v_exp_f32_e32 v13, v13
	v_cvt_i32_f32_e32 v14, v15
	s_mov_b32 s10, 0xc2ce8ed0
	v_cmp_ngt_f32_e64 s[10:11], s10, v10
	v_lshl_add_u32 v15, v5, 2, v3
	v_ldexp_f32 v13, v13, v14
	v_cndmask_b32_e64 v13, 0, v13, s[10:11]
	s_mov_b32 s10, 0x42b17218
	v_mov_b32_e32 v14, 0x7f800000
	v_cmp_nlt_f32_e64 s[10:11], s10, v10
	s_nop 1
	v_cndmask_b32_e64 v10, v14, v13, s[10:11]
	ds_write_b32 v15, v10 offset:4
	s_or_b64 exec, exec, s[40:41]
	s_and_saveexec_b64 s[40:41], s[8:9]
	s_cbranch_execnz .LBB3_42
	s_branch .LBB3_43
.LBB3_55:
	v_lshl_add_u32 v8, v5, 2, v3
	v_mov_b32_e32 v10, 0
	ds_write_b32 v8, v10
	s_or_b64 exec, exec, s[20:21]
	s_and_saveexec_b64 s[20:21], s[0:1]
	s_cbranch_execz .LBB3_48
.LBB3_56:
	v_lshl_add_u32 v8, v5, 2, v3
	v_mov_b32_e32 v10, 0
	ds_write_b32 v8, v10 offset:4
	s_or_b64 exec, exec, s[20:21]
	s_and_saveexec_b64 s[0:1], s[8:9]
	s_cbranch_execnz .LBB3_49
	s_branch .LBB3_50
	.section	.rodata,"a",@progbits
	.p2align	6, 0x0
	.amdhsa_kernel _ZN7ck_tile6kentryINS_6gfx9_tELi2ENS_27FmhaFwdSplitKVCombineKernelINS_34BlockFmhaFwdSplitKVCombinePipelineINS_38BlockFmhaSplitKVCombinePipelineProblemIffDF16bLi256ELb0ELi32ENS_31TileFmhaFwdSplitKVCombineTraitsILb0ELb0ELb1ELb0ELi5ELin1EEEEENS_47BlockFmhaFwdSplitKVCombinePipelineDefaultPolicyEEENS_17Default2DEpilogueINS_24Default2DEpilogueProblemIfDF16bLb0ELb0ELb1EEEvEEEEJNSE_14BatchModeKargsEEEENSt9enable_ifIXnt26kattr_no_packed_fp32_ops_vIT_EEvE4typeEDpT2_
		.amdhsa_group_segment_fixed_size 5260
		.amdhsa_private_segment_fixed_size 0
		.amdhsa_kernarg_size 104
		.amdhsa_user_sgpr_count 2
		.amdhsa_user_sgpr_dispatch_ptr 0
		.amdhsa_user_sgpr_queue_ptr 0
		.amdhsa_user_sgpr_kernarg_segment_ptr 1
		.amdhsa_user_sgpr_dispatch_id 0
		.amdhsa_user_sgpr_kernarg_preload_length 0
		.amdhsa_user_sgpr_kernarg_preload_offset 0
		.amdhsa_user_sgpr_private_segment_size 0
		.amdhsa_uses_dynamic_stack 0
		.amdhsa_enable_private_segment 0
		.amdhsa_system_sgpr_workgroup_id_x 1
		.amdhsa_system_sgpr_workgroup_id_y 1
		.amdhsa_system_sgpr_workgroup_id_z 1
		.amdhsa_system_sgpr_workgroup_info 0
		.amdhsa_system_vgpr_workitem_id 0
		.amdhsa_next_free_vgpr 26
		.amdhsa_next_free_sgpr 51
		.amdhsa_accum_offset 28
		.amdhsa_reserve_vcc 1
		.amdhsa_float_round_mode_32 0
		.amdhsa_float_round_mode_16_64 0
		.amdhsa_float_denorm_mode_32 0
		.amdhsa_float_denorm_mode_16_64 3
		.amdhsa_dx10_clamp 1
		.amdhsa_ieee_mode 1
		.amdhsa_fp16_overflow 0
		.amdhsa_tg_split 0
		.amdhsa_exception_fp_ieee_invalid_op 0
		.amdhsa_exception_fp_denorm_src 0
		.amdhsa_exception_fp_ieee_div_zero 0
		.amdhsa_exception_fp_ieee_overflow 0
		.amdhsa_exception_fp_ieee_underflow 0
		.amdhsa_exception_fp_ieee_inexact 0
		.amdhsa_exception_int_div_zero 0
	.end_amdhsa_kernel
	.section	.text._ZN7ck_tile6kentryINS_6gfx9_tELi2ENS_27FmhaFwdSplitKVCombineKernelINS_34BlockFmhaFwdSplitKVCombinePipelineINS_38BlockFmhaSplitKVCombinePipelineProblemIffDF16bLi256ELb0ELi32ENS_31TileFmhaFwdSplitKVCombineTraitsILb0ELb0ELb1ELb0ELi5ELin1EEEEENS_47BlockFmhaFwdSplitKVCombinePipelineDefaultPolicyEEENS_17Default2DEpilogueINS_24Default2DEpilogueProblemIfDF16bLb0ELb0ELb1EEEvEEEEJNSE_14BatchModeKargsEEEENSt9enable_ifIXnt26kattr_no_packed_fp32_ops_vIT_EEvE4typeEDpT2_,"axG",@progbits,_ZN7ck_tile6kentryINS_6gfx9_tELi2ENS_27FmhaFwdSplitKVCombineKernelINS_34BlockFmhaFwdSplitKVCombinePipelineINS_38BlockFmhaSplitKVCombinePipelineProblemIffDF16bLi256ELb0ELi32ENS_31TileFmhaFwdSplitKVCombineTraitsILb0ELb0ELb1ELb0ELi5ELin1EEEEENS_47BlockFmhaFwdSplitKVCombinePipelineDefaultPolicyEEENS_17Default2DEpilogueINS_24Default2DEpilogueProblemIfDF16bLb0ELb0ELb1EEEvEEEEJNSE_14BatchModeKargsEEEENSt9enable_ifIXnt26kattr_no_packed_fp32_ops_vIT_EEvE4typeEDpT2_,comdat
.Lfunc_end3:
	.size	_ZN7ck_tile6kentryINS_6gfx9_tELi2ENS_27FmhaFwdSplitKVCombineKernelINS_34BlockFmhaFwdSplitKVCombinePipelineINS_38BlockFmhaSplitKVCombinePipelineProblemIffDF16bLi256ELb0ELi32ENS_31TileFmhaFwdSplitKVCombineTraitsILb0ELb0ELb1ELb0ELi5ELin1EEEEENS_47BlockFmhaFwdSplitKVCombinePipelineDefaultPolicyEEENS_17Default2DEpilogueINS_24Default2DEpilogueProblemIfDF16bLb0ELb0ELb1EEEvEEEEJNSE_14BatchModeKargsEEEENSt9enable_ifIXnt26kattr_no_packed_fp32_ops_vIT_EEvE4typeEDpT2_, .Lfunc_end3-_ZN7ck_tile6kentryINS_6gfx9_tELi2ENS_27FmhaFwdSplitKVCombineKernelINS_34BlockFmhaFwdSplitKVCombinePipelineINS_38BlockFmhaSplitKVCombinePipelineProblemIffDF16bLi256ELb0ELi32ENS_31TileFmhaFwdSplitKVCombineTraitsILb0ELb0ELb1ELb0ELi5ELin1EEEEENS_47BlockFmhaFwdSplitKVCombinePipelineDefaultPolicyEEENS_17Default2DEpilogueINS_24Default2DEpilogueProblemIfDF16bLb0ELb0ELb1EEEvEEEEJNSE_14BatchModeKargsEEEENSt9enable_ifIXnt26kattr_no_packed_fp32_ops_vIT_EEvE4typeEDpT2_
                                        ; -- End function
	.set _ZN7ck_tile6kentryINS_6gfx9_tELi2ENS_27FmhaFwdSplitKVCombineKernelINS_34BlockFmhaFwdSplitKVCombinePipelineINS_38BlockFmhaSplitKVCombinePipelineProblemIffDF16bLi256ELb0ELi32ENS_31TileFmhaFwdSplitKVCombineTraitsILb0ELb0ELb1ELb0ELi5ELin1EEEEENS_47BlockFmhaFwdSplitKVCombinePipelineDefaultPolicyEEENS_17Default2DEpilogueINS_24Default2DEpilogueProblemIfDF16bLb0ELb0ELb1EEEvEEEEJNSE_14BatchModeKargsEEEENSt9enable_ifIXnt26kattr_no_packed_fp32_ops_vIT_EEvE4typeEDpT2_.num_vgpr, 26
	.set _ZN7ck_tile6kentryINS_6gfx9_tELi2ENS_27FmhaFwdSplitKVCombineKernelINS_34BlockFmhaFwdSplitKVCombinePipelineINS_38BlockFmhaSplitKVCombinePipelineProblemIffDF16bLi256ELb0ELi32ENS_31TileFmhaFwdSplitKVCombineTraitsILb0ELb0ELb1ELb0ELi5ELin1EEEEENS_47BlockFmhaFwdSplitKVCombinePipelineDefaultPolicyEEENS_17Default2DEpilogueINS_24Default2DEpilogueProblemIfDF16bLb0ELb0ELb1EEEvEEEEJNSE_14BatchModeKargsEEEENSt9enable_ifIXnt26kattr_no_packed_fp32_ops_vIT_EEvE4typeEDpT2_.num_agpr, 0
	.set _ZN7ck_tile6kentryINS_6gfx9_tELi2ENS_27FmhaFwdSplitKVCombineKernelINS_34BlockFmhaFwdSplitKVCombinePipelineINS_38BlockFmhaSplitKVCombinePipelineProblemIffDF16bLi256ELb0ELi32ENS_31TileFmhaFwdSplitKVCombineTraitsILb0ELb0ELb1ELb0ELi5ELin1EEEEENS_47BlockFmhaFwdSplitKVCombinePipelineDefaultPolicyEEENS_17Default2DEpilogueINS_24Default2DEpilogueProblemIfDF16bLb0ELb0ELb1EEEvEEEEJNSE_14BatchModeKargsEEEENSt9enable_ifIXnt26kattr_no_packed_fp32_ops_vIT_EEvE4typeEDpT2_.numbered_sgpr, 51
	.set _ZN7ck_tile6kentryINS_6gfx9_tELi2ENS_27FmhaFwdSplitKVCombineKernelINS_34BlockFmhaFwdSplitKVCombinePipelineINS_38BlockFmhaSplitKVCombinePipelineProblemIffDF16bLi256ELb0ELi32ENS_31TileFmhaFwdSplitKVCombineTraitsILb0ELb0ELb1ELb0ELi5ELin1EEEEENS_47BlockFmhaFwdSplitKVCombinePipelineDefaultPolicyEEENS_17Default2DEpilogueINS_24Default2DEpilogueProblemIfDF16bLb0ELb0ELb1EEEvEEEEJNSE_14BatchModeKargsEEEENSt9enable_ifIXnt26kattr_no_packed_fp32_ops_vIT_EEvE4typeEDpT2_.num_named_barrier, 0
	.set _ZN7ck_tile6kentryINS_6gfx9_tELi2ENS_27FmhaFwdSplitKVCombineKernelINS_34BlockFmhaFwdSplitKVCombinePipelineINS_38BlockFmhaSplitKVCombinePipelineProblemIffDF16bLi256ELb0ELi32ENS_31TileFmhaFwdSplitKVCombineTraitsILb0ELb0ELb1ELb0ELi5ELin1EEEEENS_47BlockFmhaFwdSplitKVCombinePipelineDefaultPolicyEEENS_17Default2DEpilogueINS_24Default2DEpilogueProblemIfDF16bLb0ELb0ELb1EEEvEEEEJNSE_14BatchModeKargsEEEENSt9enable_ifIXnt26kattr_no_packed_fp32_ops_vIT_EEvE4typeEDpT2_.private_seg_size, 0
	.set _ZN7ck_tile6kentryINS_6gfx9_tELi2ENS_27FmhaFwdSplitKVCombineKernelINS_34BlockFmhaFwdSplitKVCombinePipelineINS_38BlockFmhaSplitKVCombinePipelineProblemIffDF16bLi256ELb0ELi32ENS_31TileFmhaFwdSplitKVCombineTraitsILb0ELb0ELb1ELb0ELi5ELin1EEEEENS_47BlockFmhaFwdSplitKVCombinePipelineDefaultPolicyEEENS_17Default2DEpilogueINS_24Default2DEpilogueProblemIfDF16bLb0ELb0ELb1EEEvEEEEJNSE_14BatchModeKargsEEEENSt9enable_ifIXnt26kattr_no_packed_fp32_ops_vIT_EEvE4typeEDpT2_.uses_vcc, 1
	.set _ZN7ck_tile6kentryINS_6gfx9_tELi2ENS_27FmhaFwdSplitKVCombineKernelINS_34BlockFmhaFwdSplitKVCombinePipelineINS_38BlockFmhaSplitKVCombinePipelineProblemIffDF16bLi256ELb0ELi32ENS_31TileFmhaFwdSplitKVCombineTraitsILb0ELb0ELb1ELb0ELi5ELin1EEEEENS_47BlockFmhaFwdSplitKVCombinePipelineDefaultPolicyEEENS_17Default2DEpilogueINS_24Default2DEpilogueProblemIfDF16bLb0ELb0ELb1EEEvEEEEJNSE_14BatchModeKargsEEEENSt9enable_ifIXnt26kattr_no_packed_fp32_ops_vIT_EEvE4typeEDpT2_.uses_flat_scratch, 0
	.set _ZN7ck_tile6kentryINS_6gfx9_tELi2ENS_27FmhaFwdSplitKVCombineKernelINS_34BlockFmhaFwdSplitKVCombinePipelineINS_38BlockFmhaSplitKVCombinePipelineProblemIffDF16bLi256ELb0ELi32ENS_31TileFmhaFwdSplitKVCombineTraitsILb0ELb0ELb1ELb0ELi5ELin1EEEEENS_47BlockFmhaFwdSplitKVCombinePipelineDefaultPolicyEEENS_17Default2DEpilogueINS_24Default2DEpilogueProblemIfDF16bLb0ELb0ELb1EEEvEEEEJNSE_14BatchModeKargsEEEENSt9enable_ifIXnt26kattr_no_packed_fp32_ops_vIT_EEvE4typeEDpT2_.has_dyn_sized_stack, 0
	.set _ZN7ck_tile6kentryINS_6gfx9_tELi2ENS_27FmhaFwdSplitKVCombineKernelINS_34BlockFmhaFwdSplitKVCombinePipelineINS_38BlockFmhaSplitKVCombinePipelineProblemIffDF16bLi256ELb0ELi32ENS_31TileFmhaFwdSplitKVCombineTraitsILb0ELb0ELb1ELb0ELi5ELin1EEEEENS_47BlockFmhaFwdSplitKVCombinePipelineDefaultPolicyEEENS_17Default2DEpilogueINS_24Default2DEpilogueProblemIfDF16bLb0ELb0ELb1EEEvEEEEJNSE_14BatchModeKargsEEEENSt9enable_ifIXnt26kattr_no_packed_fp32_ops_vIT_EEvE4typeEDpT2_.has_recursion, 0
	.set _ZN7ck_tile6kentryINS_6gfx9_tELi2ENS_27FmhaFwdSplitKVCombineKernelINS_34BlockFmhaFwdSplitKVCombinePipelineINS_38BlockFmhaSplitKVCombinePipelineProblemIffDF16bLi256ELb0ELi32ENS_31TileFmhaFwdSplitKVCombineTraitsILb0ELb0ELb1ELb0ELi5ELin1EEEEENS_47BlockFmhaFwdSplitKVCombinePipelineDefaultPolicyEEENS_17Default2DEpilogueINS_24Default2DEpilogueProblemIfDF16bLb0ELb0ELb1EEEvEEEEJNSE_14BatchModeKargsEEEENSt9enable_ifIXnt26kattr_no_packed_fp32_ops_vIT_EEvE4typeEDpT2_.has_indirect_call, 0
	.section	.AMDGPU.csdata,"",@progbits
; Kernel info:
; codeLenInByte = 4284
; TotalNumSgprs: 57
; NumVgprs: 26
; NumAgprs: 0
; TotalNumVgprs: 26
; ScratchSize: 0
; MemoryBound: 0
; FloatMode: 192
; IeeeMode: 1
; LDSByteSize: 5260 bytes/workgroup (compile time only)
; SGPRBlocks: 7
; VGPRBlocks: 3
; NumSGPRsForWavesPerEU: 57
; NumVGPRsForWavesPerEU: 26
; AccumOffset: 28
; Occupancy: 8
; WaveLimiterHint : 0
; COMPUTE_PGM_RSRC2:SCRATCH_EN: 0
; COMPUTE_PGM_RSRC2:USER_SGPR: 2
; COMPUTE_PGM_RSRC2:TRAP_HANDLER: 0
; COMPUTE_PGM_RSRC2:TGID_X_EN: 1
; COMPUTE_PGM_RSRC2:TGID_Y_EN: 1
; COMPUTE_PGM_RSRC2:TGID_Z_EN: 1
; COMPUTE_PGM_RSRC2:TIDIG_COMP_CNT: 0
; COMPUTE_PGM_RSRC3_GFX90A:ACCUM_OFFSET: 6
; COMPUTE_PGM_RSRC3_GFX90A:TG_SPLIT: 0
	.section	.text._ZN7ck_tile6kentryINS_6gfx9_tELi2ENS_27FmhaFwdSplitKVCombineKernelINS_34BlockFmhaFwdSplitKVCombinePipelineINS_38BlockFmhaSplitKVCombinePipelineProblemIffDF16bLi256ELb0ELi32ENS_31TileFmhaFwdSplitKVCombineTraitsILb0ELb0ELb1ELb0ELi6ELin1EEEEENS_47BlockFmhaFwdSplitKVCombinePipelineDefaultPolicyEEENS_17Default2DEpilogueINS_24Default2DEpilogueProblemIfDF16bLb0ELb0ELb1EEEvEEEEJNSE_14BatchModeKargsEEEENSt9enable_ifIXnt26kattr_no_packed_fp32_ops_vIT_EEvE4typeEDpT2_,"axG",@progbits,_ZN7ck_tile6kentryINS_6gfx9_tELi2ENS_27FmhaFwdSplitKVCombineKernelINS_34BlockFmhaFwdSplitKVCombinePipelineINS_38BlockFmhaSplitKVCombinePipelineProblemIffDF16bLi256ELb0ELi32ENS_31TileFmhaFwdSplitKVCombineTraitsILb0ELb0ELb1ELb0ELi6ELin1EEEEENS_47BlockFmhaFwdSplitKVCombinePipelineDefaultPolicyEEENS_17Default2DEpilogueINS_24Default2DEpilogueProblemIfDF16bLb0ELb0ELb1EEEvEEEEJNSE_14BatchModeKargsEEEENSt9enable_ifIXnt26kattr_no_packed_fp32_ops_vIT_EEvE4typeEDpT2_,comdat
	.protected	_ZN7ck_tile6kentryINS_6gfx9_tELi2ENS_27FmhaFwdSplitKVCombineKernelINS_34BlockFmhaFwdSplitKVCombinePipelineINS_38BlockFmhaSplitKVCombinePipelineProblemIffDF16bLi256ELb0ELi32ENS_31TileFmhaFwdSplitKVCombineTraitsILb0ELb0ELb1ELb0ELi6ELin1EEEEENS_47BlockFmhaFwdSplitKVCombinePipelineDefaultPolicyEEENS_17Default2DEpilogueINS_24Default2DEpilogueProblemIfDF16bLb0ELb0ELb1EEEvEEEEJNSE_14BatchModeKargsEEEENSt9enable_ifIXnt26kattr_no_packed_fp32_ops_vIT_EEvE4typeEDpT2_ ; -- Begin function _ZN7ck_tile6kentryINS_6gfx9_tELi2ENS_27FmhaFwdSplitKVCombineKernelINS_34BlockFmhaFwdSplitKVCombinePipelineINS_38BlockFmhaSplitKVCombinePipelineProblemIffDF16bLi256ELb0ELi32ENS_31TileFmhaFwdSplitKVCombineTraitsILb0ELb0ELb1ELb0ELi6ELin1EEEEENS_47BlockFmhaFwdSplitKVCombinePipelineDefaultPolicyEEENS_17Default2DEpilogueINS_24Default2DEpilogueProblemIfDF16bLb0ELb0ELb1EEEvEEEEJNSE_14BatchModeKargsEEEENSt9enable_ifIXnt26kattr_no_packed_fp32_ops_vIT_EEvE4typeEDpT2_
	.globl	_ZN7ck_tile6kentryINS_6gfx9_tELi2ENS_27FmhaFwdSplitKVCombineKernelINS_34BlockFmhaFwdSplitKVCombinePipelineINS_38BlockFmhaSplitKVCombinePipelineProblemIffDF16bLi256ELb0ELi32ENS_31TileFmhaFwdSplitKVCombineTraitsILb0ELb0ELb1ELb0ELi6ELin1EEEEENS_47BlockFmhaFwdSplitKVCombinePipelineDefaultPolicyEEENS_17Default2DEpilogueINS_24Default2DEpilogueProblemIfDF16bLb0ELb0ELb1EEEvEEEEJNSE_14BatchModeKargsEEEENSt9enable_ifIXnt26kattr_no_packed_fp32_ops_vIT_EEvE4typeEDpT2_
	.p2align	8
	.type	_ZN7ck_tile6kentryINS_6gfx9_tELi2ENS_27FmhaFwdSplitKVCombineKernelINS_34BlockFmhaFwdSplitKVCombinePipelineINS_38BlockFmhaSplitKVCombinePipelineProblemIffDF16bLi256ELb0ELi32ENS_31TileFmhaFwdSplitKVCombineTraitsILb0ELb0ELb1ELb0ELi6ELin1EEEEENS_47BlockFmhaFwdSplitKVCombinePipelineDefaultPolicyEEENS_17Default2DEpilogueINS_24Default2DEpilogueProblemIfDF16bLb0ELb0ELb1EEEvEEEEJNSE_14BatchModeKargsEEEENSt9enable_ifIXnt26kattr_no_packed_fp32_ops_vIT_EEvE4typeEDpT2_,@function
_ZN7ck_tile6kentryINS_6gfx9_tELi2ENS_27FmhaFwdSplitKVCombineKernelINS_34BlockFmhaFwdSplitKVCombinePipelineINS_38BlockFmhaSplitKVCombinePipelineProblemIffDF16bLi256ELb0ELi32ENS_31TileFmhaFwdSplitKVCombineTraitsILb0ELb0ELb1ELb0ELi6ELin1EEEEENS_47BlockFmhaFwdSplitKVCombinePipelineDefaultPolicyEEENS_17Default2DEpilogueINS_24Default2DEpilogueProblemIfDF16bLb0ELb0ELb1EEEvEEEEJNSE_14BatchModeKargsEEEENSt9enable_ifIXnt26kattr_no_packed_fp32_ops_vIT_EEvE4typeEDpT2_: ; @_ZN7ck_tile6kentryINS_6gfx9_tELi2ENS_27FmhaFwdSplitKVCombineKernelINS_34BlockFmhaFwdSplitKVCombinePipelineINS_38BlockFmhaSplitKVCombinePipelineProblemIffDF16bLi256ELb0ELi32ENS_31TileFmhaFwdSplitKVCombineTraitsILb0ELb0ELb1ELb0ELi6ELin1EEEEENS_47BlockFmhaFwdSplitKVCombinePipelineDefaultPolicyEEENS_17Default2DEpilogueINS_24Default2DEpilogueProblemIfDF16bLb0ELb0ELb1EEEvEEEEJNSE_14BatchModeKargsEEEENSt9enable_ifIXnt26kattr_no_packed_fp32_ops_vIT_EEvE4typeEDpT2_
; %bb.0:
	s_load_dwordx8 s[20:27], s[0:1], 0x1c
	s_load_dwordx4 s[28:31], s[0:1], 0x0
	s_load_dwordx2 s[34:35], s[0:1], 0x10
	s_load_dwordx2 s[40:41], s[0:1], 0x3c
	;; [unrolled: 1-line block ×3, first 2 shown]
	s_mov_b32 s53, -1
	s_waitcnt lgkmcnt(0)
	s_add_i32 s5, s21, 31
	s_ashr_i32 s6, s5, 31
	s_lshr_b32 s6, s6, 27
	s_add_i32 s5, s5, s6
	s_ashr_i32 s6, s5, 5
	s_abs_i32 s7, s6
	v_cvt_f32_u32_e32 v1, s7
	s_sub_i32 s8, 0, s7
	s_load_dword s5, s[0:1], 0x60
	s_load_dwordx4 s[36:39], s[0:1], 0x50
	s_abs_i32 s1, s2
	v_rcp_iflag_f32_e32 v1, v1
	s_xor_b32 s0, s2, s6
	s_ashr_i32 s0, s0, 31
	v_mul_f32_e32 v1, 0x4f7ffffe, v1
	v_cvt_u32_f32_e32 v1, v1
	s_nop 0
	v_readfirstlane_b32 s9, v1
	s_mul_i32 s8, s8, s9
	s_mul_hi_u32 s8, s9, s8
	s_add_i32 s9, s9, s8
	s_mul_hi_u32 s8, s1, s9
	s_mul_i32 s9, s8, s7
	s_sub_i32 s1, s1, s9
	s_add_i32 s9, s8, 1
	s_sub_i32 s10, s1, s7
	s_cmp_ge_u32 s1, s7
	s_cselect_b32 s8, s9, s8
	s_cselect_b32 s1, s10, s1
	s_add_i32 s9, s8, 1
	s_cmp_ge_u32 s1, s7
	s_cselect_b32 s1, s9, s8
	s_xor_b32 s1, s1, s0
	s_sub_i32 s55, s1, s0
	s_add_i32 s57, s22, 3
	s_getpc_b64 s[0:1]
	s_add_u32 s0, s0, _ZN7ck_tile34BlockFmhaFwdSplitKVCombinePipelineINS_38BlockFmhaSplitKVCombinePipelineProblemIffDF16bLi256ELb0ELi32ENS_31TileFmhaFwdSplitKVCombineTraitsILb0ELb0ELb1ELb0ELi6ELin1EEEEENS_47BlockFmhaFwdSplitKVCombinePipelineDefaultPolicyEE3kM0E@rel32@lo+4
	s_addc_u32 s1, s1, _ZN7ck_tile34BlockFmhaFwdSplitKVCombinePipelineINS_38BlockFmhaSplitKVCombinePipelineProblemIffDF16bLi256ELb0ELi32ENS_31TileFmhaFwdSplitKVCombineTraitsILb0ELb0ELb1ELb0ELi6ELin1EEEEENS_47BlockFmhaFwdSplitKVCombinePipelineDefaultPolicyEE3kM0E@rel32@hi+12
	s_load_dword s33, s[0:1], 0x0
	s_ashr_i32 s0, s57, 31
	s_lshr_b32 s0, s0, 30
	s_add_i32 s0, s57, s0
	s_mul_i32 s58, s55, s6
	s_ashr_i32 s56, s0, 2
	s_and_b32 s52, s0, -4
.LBB4_1:                                ; =>This Inner Loop Header: Depth=1
	s_add_i32 s53, s53, 1
	s_lshl_b32 s0, 1, s53
	s_cmp_lt_u32 s0, s52
	s_cbranch_scc1 .LBB4_1
; %bb.2:
	s_mov_b32 s54, -1
.LBB4_3:                                ; =>This Inner Loop Header: Depth=1
	s_add_i32 s54, s54, 1
	s_lshl_b32 s0, 1, s54
	s_waitcnt lgkmcnt(0)
	s_cmp_lt_u32 s0, s33
	s_cbranch_scc1 .LBB4_3
; %bb.4:
	s_lshl_b64 s[0:1], 1, s53
	s_mov_b32 s6, 0
	s_sub_i32 s7, s0, s52
	s_cmp_lg_u64 s[6:7], 0
	s_cbranch_scc0 .LBB4_67
; %bb.5:
	v_cvt_f32_u32_e32 v1, s52
	v_mov_b32_e32 v2, 0x4f800000
	s_sub_u32 s6, 0, s52
	s_subb_u32 s10, 0, 0
	v_fmac_f32_e32 v1, 0, v2
	v_rcp_f32_e32 v1, v1
	s_nop 0
	v_mul_f32_e32 v1, 0x5f7ffffc, v1
	v_mul_f32_e32 v2, 0x2f800000, v1
	v_trunc_f32_e32 v2, v2
	v_fmamk_f32 v1, v2, 0xcf800000, v1
	v_cvt_u32_f32_e32 v2, v2
	v_cvt_u32_f32_e32 v1, v1
	v_readfirstlane_b32 s11, v2
	v_readfirstlane_b32 s8, v1
	s_mul_i32 s9, s6, s11
	s_mul_hi_u32 s13, s6, s8
	s_mul_i32 s12, s10, s8
	s_add_i32 s9, s13, s9
	s_add_i32 s9, s9, s12
	s_mul_i32 s14, s6, s8
	s_mul_i32 s13, s8, s9
	s_mul_hi_u32 s15, s8, s14
	s_mul_hi_u32 s12, s8, s9
	s_add_u32 s13, s15, s13
	s_addc_u32 s12, 0, s12
	s_mul_hi_u32 s16, s11, s14
	s_mul_i32 s14, s11, s14
	s_add_u32 s13, s13, s14
	s_mul_hi_u32 s15, s11, s9
	s_addc_u32 s12, s12, s16
	s_addc_u32 s13, s15, 0
	s_mul_i32 s9, s11, s9
	s_add_u32 s9, s12, s9
	s_addc_u32 s12, 0, s13
	s_add_u32 s13, s8, s9
	s_cselect_b64 s[8:9], -1, 0
	s_cmp_lg_u64 s[8:9], 0
	s_addc_u32 s11, s11, s12
	s_mul_i32 s8, s6, s11
	s_mul_hi_u32 s9, s6, s13
	s_add_i32 s8, s9, s8
	s_mul_i32 s10, s10, s13
	s_add_i32 s8, s8, s10
	s_mul_i32 s6, s6, s13
	s_mul_hi_u32 s10, s11, s6
	s_mul_i32 s12, s11, s6
	s_mul_i32 s15, s13, s8
	s_mul_hi_u32 s6, s13, s6
	s_mul_hi_u32 s14, s13, s8
	s_add_u32 s6, s6, s15
	s_addc_u32 s14, 0, s14
	s_add_u32 s6, s6, s12
	s_mul_hi_u32 s9, s11, s8
	s_addc_u32 s6, s14, s10
	s_addc_u32 s9, s9, 0
	s_mul_i32 s8, s11, s8
	s_add_u32 s6, s6, s8
	s_addc_u32 s10, 0, s9
	s_add_u32 s6, s13, s6
	s_cselect_b64 s[8:9], -1, 0
	s_cmp_lg_u64 s[8:9], 0
	s_addc_u32 s8, s11, s10
	s_mul_i32 s10, s8, 0
	s_mul_hi_u32 s11, 0, s6
	s_mul_hi_u32 s9, 0, s8
	s_add_u32 s10, s11, s10
	s_addc_u32 s9, 0, s9
	s_mul_hi_u32 s12, s7, s6
	s_mul_i32 s6, s7, s6
	s_add_u32 s6, s10, s6
	s_mul_hi_u32 s11, s7, s8
	s_addc_u32 s6, s9, s12
	s_addc_u32 s9, s11, 0
	s_mul_i32 s8, s7, s8
	s_add_u32 s10, s6, s8
	s_addc_u32 s6, 0, s9
	s_mul_i32 s6, s52, s6
	s_mul_hi_u32 s8, s52, s10
	s_add_u32 s11, s10, 1
	s_add_u32 s12, s10, 2
	s_add_i32 s6, s8, s6
	s_mul_i32 s8, s52, s10
	s_sub_u32 s13, 0, s8
	s_cselect_b64 s[8:9], -1, 0
	s_cmp_lg_u64 s[8:9], 0
	s_subb_u32 s8, s7, s6
	s_sub_u32 s9, s13, s52
	s_cselect_b64 s[6:7], -1, 0
	s_cmp_lg_u64 s[6:7], 0
	s_subb_u32 s6, s8, 0
	s_cmp_ge_u32 s9, s52
	s_cselect_b32 s7, -1, 0
	s_cmp_eq_u32 s6, 0
	s_cselect_b32 s6, s7, -1
	s_cmp_lg_u32 s6, 0
	s_cselect_b32 s6, s12, s11
	s_cmp_ge_u32 s13, s52
	s_cselect_b32 s7, -1, 0
	s_cmp_eq_u32 s8, 0
	s_cselect_b32 s7, s7, -1
	s_cmp_lg_u32 s7, 0
	s_cselect_b32 s44, s6, s10
	s_cbranch_execnz .LBB4_7
.LBB4_6:
	v_cvt_f32_u32_e32 v1, s52
	s_sub_i32 s0, 0, s52
	v_rcp_iflag_f32_e32 v1, v1
	s_nop 0
	v_mul_f32_e32 v1, 0x4f7ffffe, v1
	v_cvt_u32_f32_e32 v1, v1
	s_nop 0
	v_readfirstlane_b32 s1, v1
	s_mul_i32 s0, s0, s1
	s_mul_hi_u32 s0, s1, s0
	s_add_i32 s1, s1, s0
	s_mul_hi_u32 s0, 0, s1
	s_mul_i32 s6, s0, s52
	s_sub_i32 s6, 0, s6
	s_add_i32 s1, s0, 1
	s_sub_i32 s7, s6, s52
	s_cmp_ge_u32 s6, s52
	s_cselect_b32 s0, s1, s0
	s_cselect_b32 s6, s7, s6
	s_add_i32 s1, s0, 1
	s_cmp_ge_u32 s6, s52
	s_cselect_b32 s44, s1, s0
.LBB4_7:
	s_lshl_b64 s[0:1], 1, s54
	s_mov_b32 s6, 0
	s_sub_i32 s7, s0, s33
	s_cmp_lg_u64 s[6:7], 0
	s_cbranch_scc0 .LBB4_68
; %bb.8:
	v_cvt_f32_u32_e32 v1, s33
	v_mov_b32_e32 v2, 0x4f800000
	s_sub_u32 s6, 0, s33
	s_subb_u32 s10, 0, 0
	v_fmac_f32_e32 v1, 0, v2
	v_rcp_f32_e32 v1, v1
	s_nop 0
	v_mul_f32_e32 v1, 0x5f7ffffc, v1
	v_mul_f32_e32 v2, 0x2f800000, v1
	v_trunc_f32_e32 v2, v2
	v_fmamk_f32 v1, v2, 0xcf800000, v1
	v_cvt_u32_f32_e32 v2, v2
	v_cvt_u32_f32_e32 v1, v1
	v_readfirstlane_b32 s11, v2
	v_readfirstlane_b32 s8, v1
	s_mul_i32 s9, s6, s11
	s_mul_hi_u32 s13, s6, s8
	s_mul_i32 s12, s10, s8
	s_add_i32 s9, s13, s9
	s_add_i32 s9, s9, s12
	s_mul_i32 s14, s6, s8
	s_mul_i32 s13, s8, s9
	s_mul_hi_u32 s15, s8, s14
	s_mul_hi_u32 s12, s8, s9
	s_add_u32 s13, s15, s13
	s_addc_u32 s12, 0, s12
	s_mul_hi_u32 s16, s11, s14
	s_mul_i32 s14, s11, s14
	s_add_u32 s13, s13, s14
	s_mul_hi_u32 s15, s11, s9
	s_addc_u32 s12, s12, s16
	s_addc_u32 s13, s15, 0
	s_mul_i32 s9, s11, s9
	s_add_u32 s9, s12, s9
	s_addc_u32 s12, 0, s13
	s_add_u32 s13, s8, s9
	s_cselect_b64 s[8:9], -1, 0
	s_cmp_lg_u64 s[8:9], 0
	s_addc_u32 s11, s11, s12
	s_mul_i32 s8, s6, s11
	s_mul_hi_u32 s9, s6, s13
	s_add_i32 s8, s9, s8
	s_mul_i32 s10, s10, s13
	s_add_i32 s8, s8, s10
	s_mul_i32 s6, s6, s13
	s_mul_hi_u32 s10, s11, s6
	s_mul_i32 s12, s11, s6
	s_mul_i32 s15, s13, s8
	s_mul_hi_u32 s6, s13, s6
	s_mul_hi_u32 s14, s13, s8
	s_add_u32 s6, s6, s15
	s_addc_u32 s14, 0, s14
	s_add_u32 s6, s6, s12
	s_mul_hi_u32 s9, s11, s8
	s_addc_u32 s6, s14, s10
	s_addc_u32 s9, s9, 0
	s_mul_i32 s8, s11, s8
	s_add_u32 s6, s6, s8
	s_addc_u32 s10, 0, s9
	s_add_u32 s6, s13, s6
	s_cselect_b64 s[8:9], -1, 0
	s_cmp_lg_u64 s[8:9], 0
	s_addc_u32 s8, s11, s10
	s_mul_i32 s10, s8, 0
	s_mul_hi_u32 s11, 0, s6
	s_mul_hi_u32 s9, 0, s8
	s_add_u32 s10, s11, s10
	s_addc_u32 s9, 0, s9
	s_mul_hi_u32 s12, s7, s6
	s_mul_i32 s6, s7, s6
	s_add_u32 s6, s10, s6
	s_mul_hi_u32 s11, s7, s8
	s_addc_u32 s6, s9, s12
	s_addc_u32 s9, s11, 0
	s_mul_i32 s8, s7, s8
	s_add_u32 s10, s6, s8
	s_addc_u32 s6, 0, s9
	s_mul_i32 s6, s33, s6
	s_mul_hi_u32 s8, s33, s10
	s_add_u32 s11, s10, 1
	s_add_u32 s12, s10, 2
	s_add_i32 s6, s8, s6
	s_mul_i32 s8, s33, s10
	s_sub_u32 s13, 0, s8
	s_cselect_b64 s[8:9], -1, 0
	s_cmp_lg_u64 s[8:9], 0
	s_subb_u32 s8, s7, s6
	s_sub_u32 s9, s13, s33
	s_cselect_b64 s[6:7], -1, 0
	s_cmp_lg_u64 s[6:7], 0
	s_subb_u32 s6, s8, 0
	s_cmp_ge_u32 s9, s33
	s_cselect_b32 s7, -1, 0
	s_cmp_eq_u32 s6, 0
	s_cselect_b32 s6, s7, -1
	s_cmp_lg_u32 s6, 0
	s_cselect_b32 s6, s12, s11
	s_cmp_ge_u32 s13, s33
	s_cselect_b32 s7, -1, 0
	s_cmp_eq_u32 s8, 0
	s_cselect_b32 s7, s7, -1
	s_cmp_lg_u32 s7, 0
	s_cselect_b32 s46, s6, s10
	s_cbranch_execnz .LBB4_10
.LBB4_9:
	v_cvt_f32_u32_e32 v1, s33
	s_sub_i32 s0, 0, s33
	v_rcp_iflag_f32_e32 v1, v1
	s_nop 0
	v_mul_f32_e32 v1, 0x4f7ffffe, v1
	v_cvt_u32_f32_e32 v1, v1
	s_nop 0
	v_readfirstlane_b32 s1, v1
	s_mul_i32 s0, s0, s1
	s_mul_hi_u32 s0, s1, s0
	s_add_i32 s1, s1, s0
	s_mul_hi_u32 s0, 0, s1
	s_mul_i32 s6, s0, s33
	s_sub_i32 s6, 0, s6
	s_add_i32 s1, s0, 1
	s_sub_i32 s7, s6, s33
	s_cmp_ge_u32 s6, s33
	s_cselect_b32 s0, s1, s0
	s_cselect_b32 s6, s7, s6
	s_add_i32 s1, s0, 1
	s_cmp_ge_u32 s6, s33
	s_cselect_b32 s46, s1, s0
.LBB4_10:
	v_readfirstlane_b32 s0, v0
	v_mbcnt_lo_u32_b32 v1, -1, 0
	v_mbcnt_hi_u32_b32 v1, -1, v1
	s_lshr_b32 s0, s0, 2
	v_lshrrev_b32_e32 v4, 2, v1
	s_and_b32 s0, s0, 48
	v_add_u32_e32 v5, s0, v4
	s_add_i32 s47, s22, -1
	s_lshl_b32 s45, s55, 3
	v_and_b32_e32 v7, 3, v1
	v_cmp_gt_i32_e32 vcc, s22, v5
	v_mov_b32_e32 v2, 0
	v_mov_b32_e32 v3, 0
	s_and_saveexec_b64 s[0:1], vcc
	s_cbranch_execz .LBB4_12
; %bb.11:
	s_mul_hi_i32 s9, s25, s3
	s_mul_i32 s8, s25, s3
	s_lshl_b64 s[8:9], s[8:9], 2
	s_mul_hi_i32 s7, s38, s4
	s_mul_i32 s6, s38, s4
	s_add_u32 s8, s28, s8
	s_addc_u32 s9, s29, s9
	s_lshl_b64 s[6:7], s[6:7], 2
	s_add_u32 s8, s8, s6
	s_mul_i32 s6, s40, s47
	s_addc_u32 s9, s9, s7
	s_add_i32 s6, s6, s20
	v_mul_lo_u32 v2, v5, s40
	v_lshl_or_b32 v3, v7, 1, s45
	s_lshl_b32 s10, s6, 2
	s_mov_b32 s11, 0x20000
	v_add_lshl_u32 v2, v3, v2, 2
	buffer_load_dwordx2 v[2:3], v2, s[8:11], 0 offen
.LBB4_12:
	s_or_b64 exec, exec, s[0:1]
	v_readfirstlane_b32 s0, v0
	s_lshr_b32 s0, s0, 2
	s_and_b32 s0, s0, 48
	v_add_u32_e32 v4, s0, v4
	v_mul_u32_u24_e32 v5, 0x208, v7
	s_movk_i32 s6, 0x208
	v_lshl_add_u32 v4, v4, 3, v5
	s_waitcnt vmcnt(0)
	ds_write_b64 v4, v[2:3]
	; sched_barrier mask(0x00000000)
	v_and_b32_e32 v19, 0x78, v1
	v_cmp_gt_i32_e32 vcc, s22, v19
	v_mov_b32_e32 v20, 0xff800000
	v_bfe_u32 v2, v1, 1, 2
	v_and_b32_e32 v3, 1, v1
	v_mov_b32_e32 v22, 0xff800000
	s_waitcnt lgkmcnt(0)
	s_barrier
	s_and_saveexec_b64 s[0:1], vcc
; %bb.13:
	v_lshlrev_b32_e32 v4, 3, v19
	v_mad_u32_u24 v4, v2, s6, v4
	v_lshl_or_b32 v4, v3, 2, v4
	ds_read_b32 v22, v4
; %bb.14:
	s_or_b64 exec, exec, s[0:1]
	v_or_b32_e32 v14, 1, v19
	v_cmp_gt_i32_e64 s[0:1], s22, v14
	s_and_saveexec_b64 s[6:7], s[0:1]
; %bb.15:
	v_mul_u32_u24_e32 v4, 0x208, v2
	v_lshl_add_u32 v4, v14, 3, v4
	v_lshl_or_b32 v4, v3, 2, v4
	ds_read_b32 v20, v4
; %bb.16:
	s_or_b64 exec, exec, s[6:7]
	v_or_b32_e32 v12, 2, v19
	v_cmp_gt_i32_e64 s[16:17], s22, v12
	v_mov_b32_e32 v17, 0xff800000
	v_mov_b32_e32 v21, 0xff800000
	s_and_saveexec_b64 s[6:7], s[16:17]
; %bb.17:
	v_mul_u32_u24_e32 v4, 0x208, v2
	v_lshl_add_u32 v4, v12, 3, v4
	v_lshl_or_b32 v4, v3, 2, v4
	ds_read_b32 v21, v4
; %bb.18:
	s_or_b64 exec, exec, s[6:7]
	v_or_b32_e32 v10, 3, v19
	v_cmp_gt_i32_e64 s[14:15], s22, v10
	s_and_saveexec_b64 s[6:7], s[14:15]
; %bb.19:
	v_mul_u32_u24_e32 v4, 0x208, v2
	v_lshl_add_u32 v4, v10, 3, v4
	v_lshl_or_b32 v4, v3, 2, v4
	ds_read_b32 v17, v4
; %bb.20:
	s_or_b64 exec, exec, s[6:7]
	v_or_b32_e32 v8, 4, v19
	v_cmp_gt_i32_e64 s[6:7], s22, v8
	v_mov_b32_e32 v13, 0xff800000
	v_mov_b32_e32 v18, 0xff800000
	s_and_saveexec_b64 s[8:9], s[6:7]
; %bb.21:
	v_mul_u32_u24_e32 v4, 0x208, v2
	v_lshl_add_u32 v4, v8, 3, v4
	;; [unrolled: 22-line block ×3, first 2 shown]
	v_lshl_or_b32 v4, v3, 2, v4
	ds_read_b32 v15, v4
; %bb.26:
	s_or_b64 exec, exec, s[12:13]
	v_or_b32_e32 v4, 7, v1
	v_cmp_gt_i32_e64 s[12:13], s22, v4
	v_lshlrev_b32_e32 v4, 3, v4
	s_and_saveexec_b64 s[18:19], s[12:13]
; %bb.27:
	s_movk_i32 s25, 0x208
	v_mad_u32_u24 v9, v2, s25, v4
	v_lshl_or_b32 v9, v3, 2, v9
	ds_read_b32 v11, v9
; %bb.28:
	s_or_b64 exec, exec, s[18:19]
	s_mov_b32 s25, 0xff800000
	s_waitcnt lgkmcnt(0)
	v_max3_f32 v9, v22, s25, v20
	v_max3_f32 v9, v9, v21, v17
	;; [unrolled: 1-line block ×4, first 2 shown]
	v_lshlrev_b32_e32 v9, 2, v1
	ds_bpermute_b32 v23, v9, v16 offset:128
	v_add_u32_e32 v25, 0x80, v9
	v_add_u32_e32 v24, 64, v9
	s_waitcnt lgkmcnt(0)
	v_max_f32_e32 v23, v23, v23
	v_max_f32_e32 v16, v16, v23
	ds_bpermute_b32 v23, v9, v16 offset:64
	s_waitcnt lgkmcnt(0)
	v_max_f32_e32 v23, v23, v23
	v_max_f32_e32 v16, v16, v23
	ds_bpermute_b32 v26, v9, v16 offset:32
	v_add_u32_e32 v23, 32, v9
	s_waitcnt lgkmcnt(0)
	v_max_f32_e32 v26, v26, v26
	v_max_f32_e32 v16, v16, v26
	v_cmp_neq_f32_e64 s[18:19], s25, v16
	v_mov_b32_e32 v26, 0
	s_and_saveexec_b64 s[28:29], s[18:19]
	s_cbranch_execz .LBB4_30
; %bb.29:
	v_sub_f32_e32 v26, v22, v16
	s_mov_b32 s38, 0x3fb8aa3b
	v_mul_f32_e32 v27, 0x3fb8aa3b, v26
	v_fma_f32 v28, v26, s38, -v27
	v_rndne_f32_e32 v29, v27
	v_fmac_f32_e32 v28, 0x32a5705f, v26
	v_sub_f32_e32 v27, v27, v29
	v_add_f32_e32 v27, v27, v28
	v_exp_f32_e32 v27, v27
	v_cvt_i32_f32_e32 v28, v29
	s_mov_b32 s40, 0xc2ce8ed0
	v_cmp_ngt_f32_e64 s[18:19], s40, v26
	s_mov_b32 s48, 0x42b17218
	v_ldexp_f32 v27, v27, v28
	v_sub_f32_e32 v28, v20, v16
	v_mul_f32_e32 v29, 0x3fb8aa3b, v28
	v_fma_f32 v30, v28, s38, -v29
	v_rndne_f32_e32 v31, v29
	v_fmac_f32_e32 v30, 0x32a5705f, v28
	v_sub_f32_e32 v29, v29, v31
	v_add_f32_e32 v29, v29, v30
	v_exp_f32_e32 v29, v29
	v_cvt_i32_f32_e32 v30, v31
	v_cndmask_b32_e64 v27, 0, v27, s[18:19]
	v_mov_b32_e32 v31, 0x7f800000
	v_cmp_nlt_f32_e64 s[18:19], s48, v26
	s_nop 1
	v_cndmask_b32_e64 v26, v31, v27, s[18:19]
	v_ldexp_f32 v27, v29, v30
	v_sub_f32_e32 v29, v21, v16
	v_mul_f32_e32 v30, 0x3fb8aa3b, v29
	v_fma_f32 v32, v29, s38, -v30
	v_rndne_f32_e32 v33, v30
	v_fmac_f32_e32 v32, 0x32a5705f, v29
	v_sub_f32_e32 v30, v30, v33
	v_add_f32_e32 v30, v30, v32
	v_exp_f32_e32 v30, v30
	v_cvt_i32_f32_e32 v32, v33
	v_cmp_ngt_f32_e64 s[18:19], s40, v28
	s_nop 1
	v_cndmask_b32_e64 v27, 0, v27, s[18:19]
	v_cmp_nlt_f32_e64 s[18:19], s48, v28
	v_ldexp_f32 v28, v30, v32
	v_sub_f32_e32 v30, v17, v16
	v_mul_f32_e32 v32, 0x3fb8aa3b, v30
	v_fma_f32 v33, v30, s38, -v32
	v_rndne_f32_e32 v34, v32
	v_fmac_f32_e32 v33, 0x32a5705f, v30
	v_sub_f32_e32 v32, v32, v34
	v_add_f32_e32 v32, v32, v33
	v_exp_f32_e32 v32, v32
	v_cvt_i32_f32_e32 v33, v34
	v_cndmask_b32_e64 v27, v31, v27, s[18:19]
	v_cmp_ngt_f32_e64 s[18:19], s40, v29
	v_add_f32_e32 v26, v26, v27
	s_nop 0
	v_cndmask_b32_e64 v28, 0, v28, s[18:19]
	v_cmp_nlt_f32_e64 s[18:19], s48, v29
	v_ldexp_f32 v29, v32, v33
	v_sub_f32_e32 v32, v18, v16
	v_mul_f32_e32 v33, 0x3fb8aa3b, v32
	v_fma_f32 v34, v32, s38, -v33
	v_rndne_f32_e32 v35, v33
	v_fmac_f32_e32 v34, 0x32a5705f, v32
	v_sub_f32_e32 v33, v33, v35
	v_add_f32_e32 v33, v33, v34
	v_exp_f32_e32 v33, v33
	v_cvt_i32_f32_e32 v34, v35
	v_cndmask_b32_e64 v28, v31, v28, s[18:19]
	v_cmp_ngt_f32_e64 s[18:19], s40, v30
	v_add_f32_e32 v26, v28, v26
	;; [unrolled: 16-line block ×5, first 2 shown]
	s_nop 0
	v_cndmask_b32_e64 v33, 0, v33, s[18:19]
	v_cmp_nlt_f32_e64 s[18:19], s48, v34
	v_ldexp_f32 v34, v36, v37
	s_nop 0
	v_cndmask_b32_e64 v33, v31, v33, s[18:19]
	v_cmp_ngt_f32_e64 s[18:19], s40, v35
	v_add_f32_e32 v26, v33, v26
	s_nop 0
	v_cndmask_b32_e64 v34, 0, v34, s[18:19]
	v_cmp_nlt_f32_e64 s[18:19], s48, v35
	s_nop 1
	v_cndmask_b32_e64 v31, v31, v34, s[18:19]
	v_add_f32_e32 v26, v31, v26
.LBB4_30:
	s_or_b64 exec, exec, s[28:29]
	ds_bpermute_b32 v25, v25, v26
	s_mov_b32 s18, 0x3f317217
	s_mov_b32 s19, 0x7f800000
	s_mov_b64 s[48:49], 0
	s_waitcnt lgkmcnt(0)
	v_add_f32_e32 v25, v26, v25
	ds_bpermute_b32 v24, v24, v25
	s_barrier
	s_waitcnt lgkmcnt(0)
	v_add_f32_e32 v24, v25, v24
	ds_bpermute_b32 v23, v23, v24
	v_mov_b32_e32 v25, 0xff800000
	s_waitcnt lgkmcnt(0)
	v_add_f32_e32 v23, v24, v23
	v_log_f32_e32 v24, v23
	s_nop 0
	v_mul_f32_e32 v26, 0x3f317217, v24
	v_fma_f32 v26, v24, s18, -v26
	v_fmamk_f32 v26, v24, 0x3377d1cf, v26
	v_fmac_f32_e32 v26, 0x3f317217, v24
	v_cmp_lt_f32_e64 s[18:19], |v24|, s19
	s_nop 1
	v_cndmask_b32_e64 v24, v24, v26, s[18:19]
	v_add_f32_e32 v16, v16, v24
	v_cmp_neq_f32_e64 s[18:19], 0, v23
                                        ; implicit-def: $vgpr23
	s_nop 1
	v_cndmask_b32_e64 v16, v25, v16, s[18:19]
	v_cmp_neq_f32_e64 s[18:19], s25, v16
	s_and_saveexec_b64 s[28:29], s[18:19]
	s_xor_b64 s[28:29], exec, s[28:29]
	s_cbranch_execnz .LBB4_47
; %bb.31:
	s_andn2_saveexec_b64 s[18:19], s[28:29]
	s_cbranch_execnz .LBB4_58
.LBB4_32:
	s_or_b64 exec, exec, s[18:19]
	s_and_saveexec_b64 s[0:1], s[48:49]
.LBB4_33:
	s_movk_i32 s6, 0x208
	v_mad_u32_u24 v2, v2, s6, v4
	v_lshl_or_b32 v2, v3, 2, v2
	ds_write_b32 v2, v23
.LBB4_34:
	s_or_b64 exec, exec, s[0:1]
	s_mul_hi_i32 s7, s36, s3
	s_mul_i32 s6, s36, s3
	s_lshl_b64 s[6:7], s[6:7], 2
	s_mul_hi_i32 s1, s37, s4
	s_mul_i32 s0, s37, s4
	s_add_u32 s6, s42, s6
	s_addc_u32 s7, s43, s7
	s_lshl_b64 s[0:1], s[0:1], 2
	s_add_u32 s8, s6, s0
	v_and_b32_e32 v6, 7, v1
	s_addc_u32 s9, s7, s1
	s_sub_i32 s0, s2, s58
	v_or_b32_e32 v2, s45, v6
	s_add_i32 s6, s20, -1
	s_lshl_b32 s2, s0, 5
	s_lshl_b32 s10, s20, 2
	s_mov_b32 s11, 0x20000
	v_lshlrev_b32_e32 v2, 2, v2
	s_mov_b32 s7, 0
	v_readfirstlane_b32 s0, v0
	v_lshrrev_b32_e32 v14, 3, v1
	buffer_store_dword v16, v2, s[8:11], 0 offen
	; sched_barrier mask(0x00000000)
	v_mov_b32_e32 v5, 0
	s_cmp_lt_i32 s57, 4
	v_mov_b32_e32 v4, v5
	v_mov_b32_e32 v3, v5
	;; [unrolled: 1-line block ×3, first 2 shown]
	s_waitcnt lgkmcnt(0)
	s_barrier
	s_cbranch_scc1 .LBB4_46
; %bb.35:
	s_mul_i32 s9, s23, s6
	s_mul_i32 s56, s56, s55
	;; [unrolled: 1-line block ×3, first 2 shown]
	s_add_i32 s9, s9, s21
	s_mul_hi_i32 s15, s26, s3
	s_mul_i32 s14, s26, s3
	s_add_i32 s12, s46, 1
	s_add_i32 s13, s44, 1
	s_lshl_b32 s1, s56, 5
	s_add_i32 s10, s9, s8
	s_lshl_b64 s[14:15], s[14:15], 2
	s_mul_hi_i32 s9, s39, s4
	s_mul_i32 s8, s39, s4
	s_add_u32 s14, s30, s14
	s_addc_u32 s15, s31, s15
	s_lshl_b64 s[8:9], s[8:9], 2
	s_add_u32 s8, s14, s8
	s_addc_u32 s9, s15, s9
	s_lshr_b32 s0, s0, 3
	s_and_b32 s0, s0, 0x1ffffff8
	s_add_i32 s0, s0, s1
	v_add_u32_e32 v15, s0, v14
	v_mul_hi_u32 v2, s12, v15
	v_add_u32_e32 v2, v15, v2
	v_lshrrev_b32_e32 v2, s54, v2
	v_mul_hi_u32 v3, s13, v2
	v_add_u32_e32 v3, v2, v3
	v_lshrrev_b32_e32 v18, s53, v3
	v_mul_lo_u32 v3, v18, s52
	v_sub_u32_e32 v20, v2, v3
	v_mul_lo_u32 v2, v2, s33
	v_sub_u32_e32 v8, v15, v2
	v_mad_u64_u32 v[2:3], s[0:1], v18, s33, v[8:9]
	v_lshl_or_b32 v4, v6, 2, s2
	v_mul_lo_u32 v5, v20, s41
	v_mul_lo_u32 v2, v2, s23
	v_add3_u32 v16, v4, v5, v2
	v_mov_b32_e32 v2, 0
	s_lshl_b32 s10, s10, 2
	v_bfe_u32 v17, v1, 3, 1
	v_add_u32_e32 v6, 32, v15
	s_sub_i32 s14, 0, s33
	s_movk_i32 s15, 0x208
	v_mov_b32_e32 v19, v20
	v_mov_b32_e32 v3, v2
	;; [unrolled: 1-line block ×4, first 2 shown]
.LBB4_36:                               ; =>This Inner Loop Header: Depth=1
	v_cmp_gt_i32_e32 vcc, s22, v19
	v_lshlrev_b32_e32 v21, 2, v16
	v_mov_b32_e32 v10, 0
	s_and_saveexec_b64 s[0:1], vcc
	s_cbranch_execz .LBB4_38
; %bb.37:                               ;   in Loop: Header=BB4_36 Depth=1
	buffer_load_dword v10, v21, s[8:11], 0 offen
.LBB4_38:                               ;   in Loop: Header=BB4_36 Depth=1
	s_or_b64 exec, exec, s[0:1]
	v_mov_b32_e32 v12, 0
	v_mov_b32_e32 v11, 0
	s_and_saveexec_b64 s[0:1], vcc
	s_cbranch_execnz .LBB4_44
; %bb.39:                               ;   in Loop: Header=BB4_36 Depth=1
	s_or_b64 exec, exec, s[0:1]
	s_and_saveexec_b64 s[0:1], vcc
	s_cbranch_execnz .LBB4_45
.LBB4_40:                               ;   in Loop: Header=BB4_36 Depth=1
	s_or_b64 exec, exec, s[0:1]
	v_mov_b32_e32 v13, 0
	s_and_saveexec_b64 s[0:1], vcc
	s_cbranch_execz .LBB4_42
.LBB4_41:                               ;   in Loop: Header=BB4_36 Depth=1
	buffer_load_dword v13, v21, s[8:11], 0 offen offset:12
.LBB4_42:                               ;   in Loop: Header=BB4_36 Depth=1
	s_or_b64 exec, exec, s[0:1]
	v_readfirstlane_b32 s0, v0
	s_lshr_b32 s1, s0, 6
	s_lshr_b32 s0, s0, 3
	s_and_b32 s0, s0, 0x1ffffff8
	v_add_u32_e32 v21, s0, v14
	s_lshl_b32 s0, s1, 3
	v_subrev_u32_e32 v21, s0, v21
	v_lshrrev_b32_e32 v21, 1, v21
	s_add_i32 s16, s7, s1
	v_mul_lo_u32 v21, v21, s15
	v_lshl_add_u32 v21, s16, 3, v21
	v_lshl_or_b32 v21, v17, 2, v21
	ds_read_b32 v22, v21
	v_add_u32_e32 v15, 32, v15
	s_add_i32 s7, s7, 4
	s_cmp_lt_i32 s7, s52
	s_waitcnt vmcnt(0) lgkmcnt(0)
	v_pk_fma_f32 v[2:3], v[10:11], v[22:23], v[2:3] op_sel_hi:[1,0,1]
	v_mul_hi_u32 v10, s12, v6
	v_add_u32_e32 v10, v15, v10
	v_pk_fma_f32 v[4:5], v[12:13], v[22:23], v[4:5] op_sel_hi:[1,0,1]
	v_lshrrev_b32_e32 v13, s54, v10
	v_mad_u64_u32 v[10:11], s[0:1], s14, v13, v[6:7]
	v_mul_hi_u32 v11, s13, v13
	v_add_u32_e32 v11, v13, v11
	v_lshrrev_b32_e32 v11, s53, v11
	v_mul_lo_u32 v12, v11, s52
	v_sub_u32_e32 v18, v11, v18
	v_sub_u32_e32 v12, v13, v12
	;; [unrolled: 1-line block ×3, first 2 shown]
	v_mul_lo_u32 v13, s33, v13
	v_sub_u32_e32 v8, v13, v8
	v_sub_u32_e32 v20, v12, v20
	v_add_u32_e32 v8, v6, v8
	v_mul_lo_u32 v13, v20, s41
	v_mul_lo_u32 v8, v8, s23
	v_add_u32_e32 v19, v20, v19
	v_add3_u32 v16, v13, v16, v8
	v_add_u32_e32 v6, 32, v6
	s_cbranch_scc0 .LBB4_46
; %bb.43:                               ;   in Loop: Header=BB4_36 Depth=1
	v_mov_b32_e32 v8, v10
	v_mov_b32_e32 v18, v11
	;; [unrolled: 1-line block ×3, first 2 shown]
	s_branch .LBB4_36
.LBB4_44:                               ;   in Loop: Header=BB4_36 Depth=1
	buffer_load_dword v11, v21, s[8:11], 0 offen offset:4
	s_or_b64 exec, exec, s[0:1]
	s_and_saveexec_b64 s[0:1], vcc
	s_cbranch_execz .LBB4_40
.LBB4_45:                               ;   in Loop: Header=BB4_36 Depth=1
	buffer_load_dword v12, v21, s[8:11], 0 offen offset:8
	s_or_b64 exec, exec, s[0:1]
	v_mov_b32_e32 v13, 0
	s_and_saveexec_b64 s[0:1], vcc
	s_cbranch_execnz .LBB4_41
	s_branch .LBB4_42
.LBB4_46:
	v_readfirstlane_b32 s0, v0
	s_lshr_b32 s1, s0, 3
	s_and_b32 s1, s1, 0xffffff8
	v_and_b32_e32 v0, 28, v9
	v_add_lshl_u32 v6, s1, v14, 4
	s_movk_i32 s1, 0x84
	v_mad_u32_u24 v0, v0, s1, v6
	ds_write_b128 v0, v[2:5] offset:2072
	; sched_barrier mask(0x00000000)
	s_lshr_b32 s0, s0, 5
	s_and_b32 s0, s0, 0x7fffffe
	v_lshrrev_b32_e32 v0, 5, v1
	v_bfe_u32 v2, v1, 2, 3
	v_add_u32_e32 v0, s0, v0
	v_mul_u32_u24_e32 v2, 0x210, v2
	v_lshl_add_u32 v2, v0, 4, v2
	v_lshl_or_b32 v2, v7, 2, v2
	v_add_u32_e32 v4, 0x800, v2
	s_waitcnt lgkmcnt(0)
	s_barrier
	ds_read2_b32 v[2:3], v4 offset0:70 offset1:102
	ds_read2_b32 v[4:5], v4 offset0:6 offset1:38
	s_mul_i32 s0, s24, s6
	s_add_i32 s6, s0, s21
	s_mul_hi_i32 s1, s27, s3
	s_mul_i32 s0, s27, s3
	s_lshl_b64 s[0:1], s[0:1], 1
	s_add_u32 s3, s34, s0
	s_waitcnt lgkmcnt(0)
	v_add_f32_e32 v4, 0, v4
	s_addc_u32 s7, s35, s1
	s_mul_hi_i32 s1, s5, s4
	s_mul_i32 s0, s5, s4
	v_add_f32_e32 v4, v5, v4
	s_lshl_b64 s[0:1], s[0:1], 1
	v_add_f32_e32 v2, v2, v4
	v_add_u32_e32 v0, s45, v0
	s_add_u32 s0, s3, s0
	v_add_f32_e32 v2, v3, v2
	v_and_or_b32 v1, v1, 31, s2
	v_mul_lo_u32 v0, v0, s24
	s_addc_u32 s1, s7, s1
	v_cvt_pk_bf16_f32 v2, v2, s0
	s_lshl_b32 s2, s6, 1
	s_mov_b32 s3, 0x20000
	v_add_lshl_u32 v0, v1, v0, 1
	buffer_store_short v2, v0, s[0:3], 0 offen
	s_endpgm
.LBB4_47:
	s_and_saveexec_b64 s[48:49], vcc
	s_cbranch_execnz .LBB4_69
; %bb.48:
	s_or_b64 exec, exec, s[48:49]
	s_and_saveexec_b64 s[48:49], s[0:1]
	s_cbranch_execnz .LBB4_70
.LBB4_49:
	s_or_b64 exec, exec, s[48:49]
	s_and_saveexec_b64 s[48:49], s[16:17]
	s_cbranch_execnz .LBB4_71
.LBB4_50:
	s_or_b64 exec, exec, s[48:49]
	s_and_saveexec_b64 s[48:49], s[14:15]
	s_cbranch_execnz .LBB4_72
.LBB4_51:
	s_or_b64 exec, exec, s[48:49]
	s_and_saveexec_b64 s[48:49], s[6:7]
	s_cbranch_execnz .LBB4_73
.LBB4_52:
	s_or_b64 exec, exec, s[48:49]
	s_and_saveexec_b64 s[48:49], s[8:9]
	s_cbranch_execnz .LBB4_74
.LBB4_53:
	s_or_b64 exec, exec, s[48:49]
	s_and_saveexec_b64 s[48:49], s[10:11]
	s_cbranch_execz .LBB4_55
.LBB4_54:
	v_sub_f32_e32 v6, v15, v16
	s_mov_b32 s18, 0x3fb8aa3b
	v_mul_f32_e32 v8, 0x3fb8aa3b, v6
	v_fma_f32 v10, v6, s18, -v8
	v_rndne_f32_e32 v12, v8
	v_fmamk_f32 v10, v6, 0x32a5705f, v10
	v_sub_f32_e32 v8, v8, v12
	v_add_f32_e32 v8, v8, v10
	v_exp_f32_e32 v8, v8
	v_cvt_i32_f32_e32 v10, v12
	s_mov_b32 s18, 0xc2ce8ed0
	v_cmp_ngt_f32_e64 s[18:19], s18, v6
	v_ldexp_f32 v8, v8, v10
	s_nop 0
	v_cndmask_b32_e64 v8, 0, v8, s[18:19]
	s_mov_b32 s18, 0x42b17218
	v_mov_b32_e32 v10, 0x7f800000
	v_cmp_nlt_f32_e64 s[18:19], s18, v6
	s_nop 1
	v_cndmask_b32_e64 v6, v10, v8, s[18:19]
	v_mul_u32_u24_e32 v8, 0x208, v2
	v_lshl_add_u32 v5, v5, 3, v8
	v_lshl_or_b32 v5, v3, 2, v5
	ds_write_b32 v5, v6
.LBB4_55:
	s_or_b64 exec, exec, s[48:49]
	s_mov_b64 s[48:49], 0
                                        ; implicit-def: $vgpr23
	s_and_saveexec_b64 s[18:19], s[12:13]
	s_xor_b64 s[50:51], exec, s[18:19]
	s_cbranch_execz .LBB4_57
; %bb.56:
	v_sub_f32_e32 v5, v11, v16
	s_mov_b32 s18, 0x3fb8aa3b
	v_mul_f32_e32 v6, 0x3fb8aa3b, v5
	v_fma_f32 v8, v5, s18, -v6
	v_rndne_f32_e32 v10, v6
	v_fmamk_f32 v8, v5, 0x32a5705f, v8
	v_sub_f32_e32 v6, v6, v10
	v_add_f32_e32 v6, v6, v8
	v_exp_f32_e32 v6, v6
	v_cvt_i32_f32_e32 v8, v10
	s_mov_b32 s18, 0xc2ce8ed0
	v_cmp_ngt_f32_e64 s[18:19], s18, v5
	s_mov_b64 s[48:49], exec
	v_ldexp_f32 v6, v6, v8
	v_cndmask_b32_e64 v6, 0, v6, s[18:19]
	s_mov_b32 s18, 0x42b17218
	v_mov_b32_e32 v8, 0x7f800000
	v_cmp_nlt_f32_e64 s[18:19], s18, v5
	s_nop 1
	v_cndmask_b32_e64 v23, v8, v6, s[18:19]
.LBB4_57:
	s_or_b64 exec, exec, s[50:51]
	s_and_b64 s[48:49], s[48:49], exec
                                        ; implicit-def: $vgpr5
                                        ; implicit-def: $vgpr6
                                        ; implicit-def: $vgpr8
                                        ; implicit-def: $vgpr10
                                        ; implicit-def: $vgpr12
                                        ; implicit-def: $vgpr14
                                        ; implicit-def: $vgpr19
	s_andn2_saveexec_b64 s[18:19], s[28:29]
	s_cbranch_execz .LBB4_32
.LBB4_58:
	s_and_saveexec_b64 s[28:29], vcc
	s_cbranch_execnz .LBB4_75
; %bb.59:
	s_or_b64 exec, exec, s[28:29]
	s_and_saveexec_b64 s[28:29], s[0:1]
	s_cbranch_execnz .LBB4_76
.LBB4_60:
	s_or_b64 exec, exec, s[28:29]
	s_and_saveexec_b64 s[0:1], s[16:17]
	s_cbranch_execnz .LBB4_77
.LBB4_61:
	s_or_b64 exec, exec, s[0:1]
	s_and_saveexec_b64 s[0:1], s[14:15]
	s_cbranch_execnz .LBB4_78
.LBB4_62:
	s_or_b64 exec, exec, s[0:1]
	s_and_saveexec_b64 s[0:1], s[6:7]
	s_cbranch_execnz .LBB4_79
.LBB4_63:
	s_or_b64 exec, exec, s[0:1]
	s_and_saveexec_b64 s[0:1], s[8:9]
	s_cbranch_execnz .LBB4_80
.LBB4_64:
	s_or_b64 exec, exec, s[0:1]
	s_and_saveexec_b64 s[0:1], s[10:11]
.LBB4_65:
	v_mul_u32_u24_e32 v6, 0x208, v2
	v_lshl_add_u32 v5, v5, 3, v6
	v_lshl_or_b32 v5, v3, 2, v5
	v_mov_b32_e32 v6, 0
	ds_write_b32 v5, v6
.LBB4_66:
	s_or_b64 exec, exec, s[0:1]
	s_andn2_b64 s[0:1], s[48:49], exec
	s_and_b64 s[6:7], s[12:13], exec
	v_mov_b32_e32 v23, 0
	s_or_b64 s[48:49], s[0:1], s[6:7]
	s_or_b64 exec, exec, s[18:19]
	s_and_saveexec_b64 s[0:1], s[48:49]
	s_cbranch_execnz .LBB4_33
	s_branch .LBB4_34
.LBB4_67:
                                        ; implicit-def: $sgpr44_sgpr45
	s_branch .LBB4_6
.LBB4_68:
                                        ; implicit-def: $sgpr46_sgpr47
	s_branch .LBB4_9
.LBB4_69:
	v_sub_f32_e32 v22, v22, v16
	s_mov_b32 s18, 0x3fb8aa3b
	v_mul_f32_e32 v23, 0x3fb8aa3b, v22
	v_fma_f32 v24, v22, s18, -v23
	v_rndne_f32_e32 v25, v23
	v_fmamk_f32 v24, v22, 0x32a5705f, v24
	v_sub_f32_e32 v23, v23, v25
	v_add_f32_e32 v23, v23, v24
	v_exp_f32_e32 v23, v23
	v_cvt_i32_f32_e32 v24, v25
	s_mov_b32 s18, 0xc2ce8ed0
	v_cmp_ngt_f32_e64 s[18:19], s18, v22
	v_lshlrev_b32_e32 v19, 3, v19
	v_ldexp_f32 v23, v23, v24
	v_cndmask_b32_e64 v23, 0, v23, s[18:19]
	s_mov_b32 s18, 0x42b17218
	v_mov_b32_e32 v24, 0x7f800000
	v_cmp_nlt_f32_e64 s[18:19], s18, v22
	s_nop 1
	v_cndmask_b32_e64 v22, v24, v23, s[18:19]
	s_movk_i32 s18, 0x208
	v_mad_u32_u24 v19, v2, s18, v19
	v_lshl_or_b32 v19, v3, 2, v19
	ds_write_b32 v19, v22
	s_or_b64 exec, exec, s[48:49]
	s_and_saveexec_b64 s[48:49], s[0:1]
	s_cbranch_execz .LBB4_49
.LBB4_70:
	v_sub_f32_e32 v19, v20, v16
	s_mov_b32 s18, 0x3fb8aa3b
	v_mul_f32_e32 v20, 0x3fb8aa3b, v19
	v_fma_f32 v22, v19, s18, -v20
	v_rndne_f32_e32 v23, v20
	v_fmamk_f32 v22, v19, 0x32a5705f, v22
	v_sub_f32_e32 v20, v20, v23
	v_add_f32_e32 v20, v20, v22
	v_exp_f32_e32 v20, v20
	v_cvt_i32_f32_e32 v22, v23
	s_mov_b32 s18, 0xc2ce8ed0
	v_cmp_ngt_f32_e64 s[18:19], s18, v19
	v_ldexp_f32 v20, v20, v22
	s_nop 0
	v_cndmask_b32_e64 v20, 0, v20, s[18:19]
	s_mov_b32 s18, 0x42b17218
	v_mov_b32_e32 v22, 0x7f800000
	v_cmp_nlt_f32_e64 s[18:19], s18, v19
	s_nop 1
	v_cndmask_b32_e64 v19, v22, v20, s[18:19]
	v_mul_u32_u24_e32 v20, 0x208, v2
	v_lshl_add_u32 v14, v14, 3, v20
	v_lshl_or_b32 v14, v3, 2, v14
	ds_write_b32 v14, v19
	s_or_b64 exec, exec, s[48:49]
	s_and_saveexec_b64 s[48:49], s[16:17]
	s_cbranch_execz .LBB4_50
.LBB4_71:
	v_sub_f32_e32 v14, v21, v16
	s_mov_b32 s18, 0x3fb8aa3b
	v_mul_f32_e32 v19, 0x3fb8aa3b, v14
	v_fma_f32 v20, v14, s18, -v19
	v_rndne_f32_e32 v21, v19
	v_fmamk_f32 v20, v14, 0x32a5705f, v20
	v_sub_f32_e32 v19, v19, v21
	v_add_f32_e32 v19, v19, v20
	v_exp_f32_e32 v19, v19
	v_cvt_i32_f32_e32 v20, v21
	s_mov_b32 s18, 0xc2ce8ed0
	v_cmp_ngt_f32_e64 s[18:19], s18, v14
	v_ldexp_f32 v19, v19, v20
	s_nop 0
	v_cndmask_b32_e64 v19, 0, v19, s[18:19]
	s_mov_b32 s18, 0x42b17218
	v_mov_b32_e32 v20, 0x7f800000
	v_cmp_nlt_f32_e64 s[18:19], s18, v14
	s_nop 1
	v_cndmask_b32_e64 v14, v20, v19, s[18:19]
	v_mul_u32_u24_e32 v19, 0x208, v2
	v_lshl_add_u32 v12, v12, 3, v19
	v_lshl_or_b32 v12, v3, 2, v12
	ds_write_b32 v12, v14
	s_or_b64 exec, exec, s[48:49]
	s_and_saveexec_b64 s[48:49], s[14:15]
	s_cbranch_execz .LBB4_51
.LBB4_72:
	v_sub_f32_e32 v12, v17, v16
	s_mov_b32 s18, 0x3fb8aa3b
	v_mul_f32_e32 v14, 0x3fb8aa3b, v12
	v_fma_f32 v17, v12, s18, -v14
	v_rndne_f32_e32 v19, v14
	v_fmamk_f32 v17, v12, 0x32a5705f, v17
	v_sub_f32_e32 v14, v14, v19
	v_add_f32_e32 v14, v14, v17
	v_exp_f32_e32 v14, v14
	v_cvt_i32_f32_e32 v17, v19
	s_mov_b32 s18, 0xc2ce8ed0
	v_cmp_ngt_f32_e64 s[18:19], s18, v12
	v_ldexp_f32 v14, v14, v17
	s_nop 0
	v_cndmask_b32_e64 v14, 0, v14, s[18:19]
	s_mov_b32 s18, 0x42b17218
	v_mov_b32_e32 v17, 0x7f800000
	v_cmp_nlt_f32_e64 s[18:19], s18, v12
	s_nop 1
	v_cndmask_b32_e64 v12, v17, v14, s[18:19]
	v_mul_u32_u24_e32 v14, 0x208, v2
	v_lshl_add_u32 v10, v10, 3, v14
	v_lshl_or_b32 v10, v3, 2, v10
	ds_write_b32 v10, v12
	s_or_b64 exec, exec, s[48:49]
	s_and_saveexec_b64 s[48:49], s[6:7]
	s_cbranch_execz .LBB4_52
.LBB4_73:
	v_sub_f32_e32 v10, v18, v16
	s_mov_b32 s18, 0x3fb8aa3b
	v_mul_f32_e32 v12, 0x3fb8aa3b, v10
	v_fma_f32 v14, v10, s18, -v12
	v_rndne_f32_e32 v17, v12
	v_fmamk_f32 v14, v10, 0x32a5705f, v14
	v_sub_f32_e32 v12, v12, v17
	v_add_f32_e32 v12, v12, v14
	v_exp_f32_e32 v12, v12
	v_cvt_i32_f32_e32 v14, v17
	s_mov_b32 s18, 0xc2ce8ed0
	v_cmp_ngt_f32_e64 s[18:19], s18, v10
	v_ldexp_f32 v12, v12, v14
	s_nop 0
	v_cndmask_b32_e64 v12, 0, v12, s[18:19]
	s_mov_b32 s18, 0x42b17218
	v_mov_b32_e32 v14, 0x7f800000
	v_cmp_nlt_f32_e64 s[18:19], s18, v10
	s_nop 1
	v_cndmask_b32_e64 v10, v14, v12, s[18:19]
	v_mul_u32_u24_e32 v12, 0x208, v2
	v_lshl_add_u32 v8, v8, 3, v12
	v_lshl_or_b32 v8, v3, 2, v8
	ds_write_b32 v8, v10
	s_or_b64 exec, exec, s[48:49]
	s_and_saveexec_b64 s[48:49], s[8:9]
	s_cbranch_execz .LBB4_53
.LBB4_74:
	v_sub_f32_e32 v8, v13, v16
	s_mov_b32 s18, 0x3fb8aa3b
	v_mul_f32_e32 v10, 0x3fb8aa3b, v8
	v_fma_f32 v12, v8, s18, -v10
	v_rndne_f32_e32 v13, v10
	v_fmamk_f32 v12, v8, 0x32a5705f, v12
	v_sub_f32_e32 v10, v10, v13
	v_add_f32_e32 v10, v10, v12
	v_exp_f32_e32 v10, v10
	v_cvt_i32_f32_e32 v12, v13
	s_mov_b32 s18, 0xc2ce8ed0
	v_cmp_ngt_f32_e64 s[18:19], s18, v8
	v_ldexp_f32 v10, v10, v12
	s_nop 0
	v_cndmask_b32_e64 v10, 0, v10, s[18:19]
	s_mov_b32 s18, 0x42b17218
	v_mov_b32_e32 v12, 0x7f800000
	v_cmp_nlt_f32_e64 s[18:19], s18, v8
	s_nop 1
	v_cndmask_b32_e64 v8, v12, v10, s[18:19]
	v_mul_u32_u24_e32 v10, 0x208, v2
	v_lshl_add_u32 v6, v6, 3, v10
	v_lshl_or_b32 v6, v3, 2, v6
	ds_write_b32 v6, v8
	s_or_b64 exec, exec, s[48:49]
	s_and_saveexec_b64 s[48:49], s[10:11]
	s_cbranch_execnz .LBB4_54
	s_branch .LBB4_55
.LBB4_75:
	v_lshlrev_b32_e32 v11, 3, v19
	s_movk_i32 s25, 0x208
	v_mad_u32_u24 v11, v2, s25, v11
	v_lshl_or_b32 v11, v3, 2, v11
	v_mov_b32_e32 v13, 0
	ds_write_b32 v11, v13
	s_or_b64 exec, exec, s[28:29]
	s_and_saveexec_b64 s[28:29], s[0:1]
	s_cbranch_execz .LBB4_60
.LBB4_76:
	v_mul_u32_u24_e32 v11, 0x208, v2
	v_lshl_add_u32 v11, v14, 3, v11
	v_lshl_or_b32 v11, v3, 2, v11
	v_mov_b32_e32 v13, 0
	ds_write_b32 v11, v13
	s_or_b64 exec, exec, s[28:29]
	s_and_saveexec_b64 s[0:1], s[16:17]
	s_cbranch_execz .LBB4_61
.LBB4_77:
	v_mul_u32_u24_e32 v11, 0x208, v2
	v_lshl_add_u32 v11, v12, 3, v11
	v_lshl_or_b32 v11, v3, 2, v11
	v_mov_b32_e32 v12, 0
	ds_write_b32 v11, v12
	s_or_b64 exec, exec, s[0:1]
	s_and_saveexec_b64 s[0:1], s[14:15]
	s_cbranch_execz .LBB4_62
.LBB4_78:
	v_mul_u32_u24_e32 v11, 0x208, v2
	v_lshl_add_u32 v10, v10, 3, v11
	v_lshl_or_b32 v10, v3, 2, v10
	v_mov_b32_e32 v11, 0
	ds_write_b32 v10, v11
	s_or_b64 exec, exec, s[0:1]
	s_and_saveexec_b64 s[0:1], s[6:7]
	s_cbranch_execz .LBB4_63
.LBB4_79:
	v_mul_u32_u24_e32 v10, 0x208, v2
	v_lshl_add_u32 v8, v8, 3, v10
	v_lshl_or_b32 v8, v3, 2, v8
	v_mov_b32_e32 v10, 0
	ds_write_b32 v8, v10
	s_or_b64 exec, exec, s[0:1]
	s_and_saveexec_b64 s[0:1], s[8:9]
	s_cbranch_execz .LBB4_64
.LBB4_80:
	v_mul_u32_u24_e32 v8, 0x208, v2
	v_lshl_add_u32 v6, v6, 3, v8
	v_lshl_or_b32 v6, v3, 2, v6
	v_mov_b32_e32 v8, 0
	ds_write_b32 v6, v8
	s_or_b64 exec, exec, s[0:1]
	s_and_saveexec_b64 s[0:1], s[10:11]
	s_cbranch_execnz .LBB4_65
	s_branch .LBB4_66
	.section	.rodata,"a",@progbits
	.p2align	6, 0x0
	.amdhsa_kernel _ZN7ck_tile6kentryINS_6gfx9_tELi2ENS_27FmhaFwdSplitKVCombineKernelINS_34BlockFmhaFwdSplitKVCombinePipelineINS_38BlockFmhaSplitKVCombinePipelineProblemIffDF16bLi256ELb0ELi32ENS_31TileFmhaFwdSplitKVCombineTraitsILb0ELb0ELb1ELb0ELi6ELin1EEEEENS_47BlockFmhaFwdSplitKVCombinePipelineDefaultPolicyEEENS_17Default2DEpilogueINS_24Default2DEpilogueProblemIfDF16bLb0ELb0ELb1EEEvEEEEJNSE_14BatchModeKargsEEEENSt9enable_ifIXnt26kattr_no_packed_fp32_ops_vIT_EEvE4typeEDpT2_
		.amdhsa_group_segment_fixed_size 6280
		.amdhsa_private_segment_fixed_size 0
		.amdhsa_kernarg_size 104
		.amdhsa_user_sgpr_count 2
		.amdhsa_user_sgpr_dispatch_ptr 0
		.amdhsa_user_sgpr_queue_ptr 0
		.amdhsa_user_sgpr_kernarg_segment_ptr 1
		.amdhsa_user_sgpr_dispatch_id 0
		.amdhsa_user_sgpr_kernarg_preload_length 0
		.amdhsa_user_sgpr_kernarg_preload_offset 0
		.amdhsa_user_sgpr_private_segment_size 0
		.amdhsa_uses_dynamic_stack 0
		.amdhsa_enable_private_segment 0
		.amdhsa_system_sgpr_workgroup_id_x 1
		.amdhsa_system_sgpr_workgroup_id_y 1
		.amdhsa_system_sgpr_workgroup_id_z 1
		.amdhsa_system_sgpr_workgroup_info 0
		.amdhsa_system_vgpr_workitem_id 0
		.amdhsa_next_free_vgpr 39
		.amdhsa_next_free_sgpr 59
		.amdhsa_accum_offset 40
		.amdhsa_reserve_vcc 1
		.amdhsa_float_round_mode_32 0
		.amdhsa_float_round_mode_16_64 0
		.amdhsa_float_denorm_mode_32 0
		.amdhsa_float_denorm_mode_16_64 3
		.amdhsa_dx10_clamp 1
		.amdhsa_ieee_mode 1
		.amdhsa_fp16_overflow 0
		.amdhsa_tg_split 0
		.amdhsa_exception_fp_ieee_invalid_op 0
		.amdhsa_exception_fp_denorm_src 0
		.amdhsa_exception_fp_ieee_div_zero 0
		.amdhsa_exception_fp_ieee_overflow 0
		.amdhsa_exception_fp_ieee_underflow 0
		.amdhsa_exception_fp_ieee_inexact 0
		.amdhsa_exception_int_div_zero 0
	.end_amdhsa_kernel
	.section	.text._ZN7ck_tile6kentryINS_6gfx9_tELi2ENS_27FmhaFwdSplitKVCombineKernelINS_34BlockFmhaFwdSplitKVCombinePipelineINS_38BlockFmhaSplitKVCombinePipelineProblemIffDF16bLi256ELb0ELi32ENS_31TileFmhaFwdSplitKVCombineTraitsILb0ELb0ELb1ELb0ELi6ELin1EEEEENS_47BlockFmhaFwdSplitKVCombinePipelineDefaultPolicyEEENS_17Default2DEpilogueINS_24Default2DEpilogueProblemIfDF16bLb0ELb0ELb1EEEvEEEEJNSE_14BatchModeKargsEEEENSt9enable_ifIXnt26kattr_no_packed_fp32_ops_vIT_EEvE4typeEDpT2_,"axG",@progbits,_ZN7ck_tile6kentryINS_6gfx9_tELi2ENS_27FmhaFwdSplitKVCombineKernelINS_34BlockFmhaFwdSplitKVCombinePipelineINS_38BlockFmhaSplitKVCombinePipelineProblemIffDF16bLi256ELb0ELi32ENS_31TileFmhaFwdSplitKVCombineTraitsILb0ELb0ELb1ELb0ELi6ELin1EEEEENS_47BlockFmhaFwdSplitKVCombinePipelineDefaultPolicyEEENS_17Default2DEpilogueINS_24Default2DEpilogueProblemIfDF16bLb0ELb0ELb1EEEvEEEEJNSE_14BatchModeKargsEEEENSt9enable_ifIXnt26kattr_no_packed_fp32_ops_vIT_EEvE4typeEDpT2_,comdat
.Lfunc_end4:
	.size	_ZN7ck_tile6kentryINS_6gfx9_tELi2ENS_27FmhaFwdSplitKVCombineKernelINS_34BlockFmhaFwdSplitKVCombinePipelineINS_38BlockFmhaSplitKVCombinePipelineProblemIffDF16bLi256ELb0ELi32ENS_31TileFmhaFwdSplitKVCombineTraitsILb0ELb0ELb1ELb0ELi6ELin1EEEEENS_47BlockFmhaFwdSplitKVCombinePipelineDefaultPolicyEEENS_17Default2DEpilogueINS_24Default2DEpilogueProblemIfDF16bLb0ELb0ELb1EEEvEEEEJNSE_14BatchModeKargsEEEENSt9enable_ifIXnt26kattr_no_packed_fp32_ops_vIT_EEvE4typeEDpT2_, .Lfunc_end4-_ZN7ck_tile6kentryINS_6gfx9_tELi2ENS_27FmhaFwdSplitKVCombineKernelINS_34BlockFmhaFwdSplitKVCombinePipelineINS_38BlockFmhaSplitKVCombinePipelineProblemIffDF16bLi256ELb0ELi32ENS_31TileFmhaFwdSplitKVCombineTraitsILb0ELb0ELb1ELb0ELi6ELin1EEEEENS_47BlockFmhaFwdSplitKVCombinePipelineDefaultPolicyEEENS_17Default2DEpilogueINS_24Default2DEpilogueProblemIfDF16bLb0ELb0ELb1EEEvEEEEJNSE_14BatchModeKargsEEEENSt9enable_ifIXnt26kattr_no_packed_fp32_ops_vIT_EEvE4typeEDpT2_
                                        ; -- End function
	.set _ZN7ck_tile6kentryINS_6gfx9_tELi2ENS_27FmhaFwdSplitKVCombineKernelINS_34BlockFmhaFwdSplitKVCombinePipelineINS_38BlockFmhaSplitKVCombinePipelineProblemIffDF16bLi256ELb0ELi32ENS_31TileFmhaFwdSplitKVCombineTraitsILb0ELb0ELb1ELb0ELi6ELin1EEEEENS_47BlockFmhaFwdSplitKVCombinePipelineDefaultPolicyEEENS_17Default2DEpilogueINS_24Default2DEpilogueProblemIfDF16bLb0ELb0ELb1EEEvEEEEJNSE_14BatchModeKargsEEEENSt9enable_ifIXnt26kattr_no_packed_fp32_ops_vIT_EEvE4typeEDpT2_.num_vgpr, 39
	.set _ZN7ck_tile6kentryINS_6gfx9_tELi2ENS_27FmhaFwdSplitKVCombineKernelINS_34BlockFmhaFwdSplitKVCombinePipelineINS_38BlockFmhaSplitKVCombinePipelineProblemIffDF16bLi256ELb0ELi32ENS_31TileFmhaFwdSplitKVCombineTraitsILb0ELb0ELb1ELb0ELi6ELin1EEEEENS_47BlockFmhaFwdSplitKVCombinePipelineDefaultPolicyEEENS_17Default2DEpilogueINS_24Default2DEpilogueProblemIfDF16bLb0ELb0ELb1EEEvEEEEJNSE_14BatchModeKargsEEEENSt9enable_ifIXnt26kattr_no_packed_fp32_ops_vIT_EEvE4typeEDpT2_.num_agpr, 0
	.set _ZN7ck_tile6kentryINS_6gfx9_tELi2ENS_27FmhaFwdSplitKVCombineKernelINS_34BlockFmhaFwdSplitKVCombinePipelineINS_38BlockFmhaSplitKVCombinePipelineProblemIffDF16bLi256ELb0ELi32ENS_31TileFmhaFwdSplitKVCombineTraitsILb0ELb0ELb1ELb0ELi6ELin1EEEEENS_47BlockFmhaFwdSplitKVCombinePipelineDefaultPolicyEEENS_17Default2DEpilogueINS_24Default2DEpilogueProblemIfDF16bLb0ELb0ELb1EEEvEEEEJNSE_14BatchModeKargsEEEENSt9enable_ifIXnt26kattr_no_packed_fp32_ops_vIT_EEvE4typeEDpT2_.numbered_sgpr, 59
	.set _ZN7ck_tile6kentryINS_6gfx9_tELi2ENS_27FmhaFwdSplitKVCombineKernelINS_34BlockFmhaFwdSplitKVCombinePipelineINS_38BlockFmhaSplitKVCombinePipelineProblemIffDF16bLi256ELb0ELi32ENS_31TileFmhaFwdSplitKVCombineTraitsILb0ELb0ELb1ELb0ELi6ELin1EEEEENS_47BlockFmhaFwdSplitKVCombinePipelineDefaultPolicyEEENS_17Default2DEpilogueINS_24Default2DEpilogueProblemIfDF16bLb0ELb0ELb1EEEvEEEEJNSE_14BatchModeKargsEEEENSt9enable_ifIXnt26kattr_no_packed_fp32_ops_vIT_EEvE4typeEDpT2_.num_named_barrier, 0
	.set _ZN7ck_tile6kentryINS_6gfx9_tELi2ENS_27FmhaFwdSplitKVCombineKernelINS_34BlockFmhaFwdSplitKVCombinePipelineINS_38BlockFmhaSplitKVCombinePipelineProblemIffDF16bLi256ELb0ELi32ENS_31TileFmhaFwdSplitKVCombineTraitsILb0ELb0ELb1ELb0ELi6ELin1EEEEENS_47BlockFmhaFwdSplitKVCombinePipelineDefaultPolicyEEENS_17Default2DEpilogueINS_24Default2DEpilogueProblemIfDF16bLb0ELb0ELb1EEEvEEEEJNSE_14BatchModeKargsEEEENSt9enable_ifIXnt26kattr_no_packed_fp32_ops_vIT_EEvE4typeEDpT2_.private_seg_size, 0
	.set _ZN7ck_tile6kentryINS_6gfx9_tELi2ENS_27FmhaFwdSplitKVCombineKernelINS_34BlockFmhaFwdSplitKVCombinePipelineINS_38BlockFmhaSplitKVCombinePipelineProblemIffDF16bLi256ELb0ELi32ENS_31TileFmhaFwdSplitKVCombineTraitsILb0ELb0ELb1ELb0ELi6ELin1EEEEENS_47BlockFmhaFwdSplitKVCombinePipelineDefaultPolicyEEENS_17Default2DEpilogueINS_24Default2DEpilogueProblemIfDF16bLb0ELb0ELb1EEEvEEEEJNSE_14BatchModeKargsEEEENSt9enable_ifIXnt26kattr_no_packed_fp32_ops_vIT_EEvE4typeEDpT2_.uses_vcc, 1
	.set _ZN7ck_tile6kentryINS_6gfx9_tELi2ENS_27FmhaFwdSplitKVCombineKernelINS_34BlockFmhaFwdSplitKVCombinePipelineINS_38BlockFmhaSplitKVCombinePipelineProblemIffDF16bLi256ELb0ELi32ENS_31TileFmhaFwdSplitKVCombineTraitsILb0ELb0ELb1ELb0ELi6ELin1EEEEENS_47BlockFmhaFwdSplitKVCombinePipelineDefaultPolicyEEENS_17Default2DEpilogueINS_24Default2DEpilogueProblemIfDF16bLb0ELb0ELb1EEEvEEEEJNSE_14BatchModeKargsEEEENSt9enable_ifIXnt26kattr_no_packed_fp32_ops_vIT_EEvE4typeEDpT2_.uses_flat_scratch, 0
	.set _ZN7ck_tile6kentryINS_6gfx9_tELi2ENS_27FmhaFwdSplitKVCombineKernelINS_34BlockFmhaFwdSplitKVCombinePipelineINS_38BlockFmhaSplitKVCombinePipelineProblemIffDF16bLi256ELb0ELi32ENS_31TileFmhaFwdSplitKVCombineTraitsILb0ELb0ELb1ELb0ELi6ELin1EEEEENS_47BlockFmhaFwdSplitKVCombinePipelineDefaultPolicyEEENS_17Default2DEpilogueINS_24Default2DEpilogueProblemIfDF16bLb0ELb0ELb1EEEvEEEEJNSE_14BatchModeKargsEEEENSt9enable_ifIXnt26kattr_no_packed_fp32_ops_vIT_EEvE4typeEDpT2_.has_dyn_sized_stack, 0
	.set _ZN7ck_tile6kentryINS_6gfx9_tELi2ENS_27FmhaFwdSplitKVCombineKernelINS_34BlockFmhaFwdSplitKVCombinePipelineINS_38BlockFmhaSplitKVCombinePipelineProblemIffDF16bLi256ELb0ELi32ENS_31TileFmhaFwdSplitKVCombineTraitsILb0ELb0ELb1ELb0ELi6ELin1EEEEENS_47BlockFmhaFwdSplitKVCombinePipelineDefaultPolicyEEENS_17Default2DEpilogueINS_24Default2DEpilogueProblemIfDF16bLb0ELb0ELb1EEEvEEEEJNSE_14BatchModeKargsEEEENSt9enable_ifIXnt26kattr_no_packed_fp32_ops_vIT_EEvE4typeEDpT2_.has_recursion, 0
	.set _ZN7ck_tile6kentryINS_6gfx9_tELi2ENS_27FmhaFwdSplitKVCombineKernelINS_34BlockFmhaFwdSplitKVCombinePipelineINS_38BlockFmhaSplitKVCombinePipelineProblemIffDF16bLi256ELb0ELi32ENS_31TileFmhaFwdSplitKVCombineTraitsILb0ELb0ELb1ELb0ELi6ELin1EEEEENS_47BlockFmhaFwdSplitKVCombinePipelineDefaultPolicyEEENS_17Default2DEpilogueINS_24Default2DEpilogueProblemIfDF16bLb0ELb0ELb1EEEvEEEEJNSE_14BatchModeKargsEEEENSt9enable_ifIXnt26kattr_no_packed_fp32_ops_vIT_EEvE4typeEDpT2_.has_indirect_call, 0
	.section	.AMDGPU.csdata,"",@progbits
; Kernel info:
; codeLenInByte = 6148
; TotalNumSgprs: 65
; NumVgprs: 39
; NumAgprs: 0
; TotalNumVgprs: 39
; ScratchSize: 0
; MemoryBound: 0
; FloatMode: 192
; IeeeMode: 1
; LDSByteSize: 6280 bytes/workgroup (compile time only)
; SGPRBlocks: 8
; VGPRBlocks: 4
; NumSGPRsForWavesPerEU: 65
; NumVGPRsForWavesPerEU: 39
; AccumOffset: 40
; Occupancy: 8
; WaveLimiterHint : 0
; COMPUTE_PGM_RSRC2:SCRATCH_EN: 0
; COMPUTE_PGM_RSRC2:USER_SGPR: 2
; COMPUTE_PGM_RSRC2:TRAP_HANDLER: 0
; COMPUTE_PGM_RSRC2:TGID_X_EN: 1
; COMPUTE_PGM_RSRC2:TGID_Y_EN: 1
; COMPUTE_PGM_RSRC2:TGID_Z_EN: 1
; COMPUTE_PGM_RSRC2:TIDIG_COMP_CNT: 0
; COMPUTE_PGM_RSRC3_GFX90A:ACCUM_OFFSET: 9
; COMPUTE_PGM_RSRC3_GFX90A:TG_SPLIT: 0
	.section	.text._ZN7ck_tile6kentryINS_6gfx9_tELi1ENS_27FmhaFwdSplitKVCombineKernelINS_34BlockFmhaFwdSplitKVCombinePipelineINS_38BlockFmhaSplitKVCombinePipelineProblemIffDF16bLi256ELb0ELi32ENS_31TileFmhaFwdSplitKVCombineTraitsILb0ELb0ELb1ELb0ELi7ELin1EEEEENS_47BlockFmhaFwdSplitKVCombinePipelineDefaultPolicyEEENS_17Default2DEpilogueINS_24Default2DEpilogueProblemIfDF16bLb0ELb0ELb1EEEvEEEEJNSE_14BatchModeKargsEEEENSt9enable_ifIXnt26kattr_no_packed_fp32_ops_vIT_EEvE4typeEDpT2_,"axG",@progbits,_ZN7ck_tile6kentryINS_6gfx9_tELi1ENS_27FmhaFwdSplitKVCombineKernelINS_34BlockFmhaFwdSplitKVCombinePipelineINS_38BlockFmhaSplitKVCombinePipelineProblemIffDF16bLi256ELb0ELi32ENS_31TileFmhaFwdSplitKVCombineTraitsILb0ELb0ELb1ELb0ELi7ELin1EEEEENS_47BlockFmhaFwdSplitKVCombinePipelineDefaultPolicyEEENS_17Default2DEpilogueINS_24Default2DEpilogueProblemIfDF16bLb0ELb0ELb1EEEvEEEEJNSE_14BatchModeKargsEEEENSt9enable_ifIXnt26kattr_no_packed_fp32_ops_vIT_EEvE4typeEDpT2_,comdat
	.protected	_ZN7ck_tile6kentryINS_6gfx9_tELi1ENS_27FmhaFwdSplitKVCombineKernelINS_34BlockFmhaFwdSplitKVCombinePipelineINS_38BlockFmhaSplitKVCombinePipelineProblemIffDF16bLi256ELb0ELi32ENS_31TileFmhaFwdSplitKVCombineTraitsILb0ELb0ELb1ELb0ELi7ELin1EEEEENS_47BlockFmhaFwdSplitKVCombinePipelineDefaultPolicyEEENS_17Default2DEpilogueINS_24Default2DEpilogueProblemIfDF16bLb0ELb0ELb1EEEvEEEEJNSE_14BatchModeKargsEEEENSt9enable_ifIXnt26kattr_no_packed_fp32_ops_vIT_EEvE4typeEDpT2_ ; -- Begin function _ZN7ck_tile6kentryINS_6gfx9_tELi1ENS_27FmhaFwdSplitKVCombineKernelINS_34BlockFmhaFwdSplitKVCombinePipelineINS_38BlockFmhaSplitKVCombinePipelineProblemIffDF16bLi256ELb0ELi32ENS_31TileFmhaFwdSplitKVCombineTraitsILb0ELb0ELb1ELb0ELi7ELin1EEEEENS_47BlockFmhaFwdSplitKVCombinePipelineDefaultPolicyEEENS_17Default2DEpilogueINS_24Default2DEpilogueProblemIfDF16bLb0ELb0ELb1EEEvEEEEJNSE_14BatchModeKargsEEEENSt9enable_ifIXnt26kattr_no_packed_fp32_ops_vIT_EEvE4typeEDpT2_
	.globl	_ZN7ck_tile6kentryINS_6gfx9_tELi1ENS_27FmhaFwdSplitKVCombineKernelINS_34BlockFmhaFwdSplitKVCombinePipelineINS_38BlockFmhaSplitKVCombinePipelineProblemIffDF16bLi256ELb0ELi32ENS_31TileFmhaFwdSplitKVCombineTraitsILb0ELb0ELb1ELb0ELi7ELin1EEEEENS_47BlockFmhaFwdSplitKVCombinePipelineDefaultPolicyEEENS_17Default2DEpilogueINS_24Default2DEpilogueProblemIfDF16bLb0ELb0ELb1EEEvEEEEJNSE_14BatchModeKargsEEEENSt9enable_ifIXnt26kattr_no_packed_fp32_ops_vIT_EEvE4typeEDpT2_
	.p2align	8
	.type	_ZN7ck_tile6kentryINS_6gfx9_tELi1ENS_27FmhaFwdSplitKVCombineKernelINS_34BlockFmhaFwdSplitKVCombinePipelineINS_38BlockFmhaSplitKVCombinePipelineProblemIffDF16bLi256ELb0ELi32ENS_31TileFmhaFwdSplitKVCombineTraitsILb0ELb0ELb1ELb0ELi7ELin1EEEEENS_47BlockFmhaFwdSplitKVCombinePipelineDefaultPolicyEEENS_17Default2DEpilogueINS_24Default2DEpilogueProblemIfDF16bLb0ELb0ELb1EEEvEEEEJNSE_14BatchModeKargsEEEENSt9enable_ifIXnt26kattr_no_packed_fp32_ops_vIT_EEvE4typeEDpT2_,@function
_ZN7ck_tile6kentryINS_6gfx9_tELi1ENS_27FmhaFwdSplitKVCombineKernelINS_34BlockFmhaFwdSplitKVCombinePipelineINS_38BlockFmhaSplitKVCombinePipelineProblemIffDF16bLi256ELb0ELi32ENS_31TileFmhaFwdSplitKVCombineTraitsILb0ELb0ELb1ELb0ELi7ELin1EEEEENS_47BlockFmhaFwdSplitKVCombinePipelineDefaultPolicyEEENS_17Default2DEpilogueINS_24Default2DEpilogueProblemIfDF16bLb0ELb0ELb1EEEvEEEEJNSE_14BatchModeKargsEEEENSt9enable_ifIXnt26kattr_no_packed_fp32_ops_vIT_EEvE4typeEDpT2_: ; @_ZN7ck_tile6kentryINS_6gfx9_tELi1ENS_27FmhaFwdSplitKVCombineKernelINS_34BlockFmhaFwdSplitKVCombinePipelineINS_38BlockFmhaSplitKVCombinePipelineProblemIffDF16bLi256ELb0ELi32ENS_31TileFmhaFwdSplitKVCombineTraitsILb0ELb0ELb1ELb0ELi7ELin1EEEEENS_47BlockFmhaFwdSplitKVCombinePipelineDefaultPolicyEEENS_17Default2DEpilogueINS_24Default2DEpilogueProblemIfDF16bLb0ELb0ELb1EEEvEEEEJNSE_14BatchModeKargsEEEENSt9enable_ifIXnt26kattr_no_packed_fp32_ops_vIT_EEvE4typeEDpT2_
; %bb.0:
	s_load_dwordx8 s[40:47], s[0:1], 0x1c
	s_load_dwordx4 s[36:39], s[0:1], 0x0
	s_load_dwordx2 s[52:53], s[0:1], 0x10
	s_load_dwordx2 s[54:55], s[0:1], 0x3c
	;; [unrolled: 1-line block ×3, first 2 shown]
	s_mov_b32 s69, -1
	s_waitcnt lgkmcnt(0)
	s_add_i32 s5, s41, 31
	s_ashr_i32 s6, s5, 31
	s_lshr_b32 s6, s6, 27
	s_add_i32 s5, s5, s6
	s_ashr_i32 s6, s5, 5
	s_abs_i32 s7, s6
	v_cvt_f32_u32_e32 v1, s7
	s_sub_i32 s8, 0, s7
	s_load_dword s5, s[0:1], 0x60
	s_load_dwordx4 s[48:51], s[0:1], 0x50
	s_abs_i32 s1, s2
	v_rcp_iflag_f32_e32 v1, v1
	s_xor_b32 s0, s2, s6
	s_ashr_i32 s0, s0, 31
	v_mul_f32_e32 v1, 0x4f7ffffe, v1
	v_cvt_u32_f32_e32 v1, v1
	s_nop 0
	v_readfirstlane_b32 s9, v1
	s_mul_i32 s8, s8, s9
	s_mul_hi_u32 s8, s9, s8
	s_add_i32 s9, s9, s8
	s_mul_hi_u32 s8, s1, s9
	s_mul_i32 s9, s8, s7
	s_sub_i32 s1, s1, s9
	s_add_i32 s9, s8, 1
	s_sub_i32 s10, s1, s7
	s_cmp_ge_u32 s1, s7
	s_cselect_b32 s8, s9, s8
	s_cselect_b32 s1, s10, s1
	s_add_i32 s9, s8, 1
	s_cmp_ge_u32 s1, s7
	s_cselect_b32 s1, s9, s8
	s_xor_b32 s1, s1, s0
	s_sub_i32 s71, s1, s0
	s_add_i32 s73, s42, 3
	s_getpc_b64 s[0:1]
	s_add_u32 s0, s0, _ZN7ck_tile34BlockFmhaFwdSplitKVCombinePipelineINS_38BlockFmhaSplitKVCombinePipelineProblemIffDF16bLi256ELb0ELi32ENS_31TileFmhaFwdSplitKVCombineTraitsILb0ELb0ELb1ELb0ELi7ELin1EEEEENS_47BlockFmhaFwdSplitKVCombinePipelineDefaultPolicyEE3kM0E@rel32@lo+4
	s_addc_u32 s1, s1, _ZN7ck_tile34BlockFmhaFwdSplitKVCombinePipelineINS_38BlockFmhaSplitKVCombinePipelineProblemIffDF16bLi256ELb0ELi32ENS_31TileFmhaFwdSplitKVCombineTraitsILb0ELb0ELb1ELb0ELi7ELin1EEEEENS_47BlockFmhaFwdSplitKVCombinePipelineDefaultPolicyEE3kM0E@rel32@hi+12
	s_load_dword s33, s[0:1], 0x0
	s_ashr_i32 s0, s73, 31
	s_lshr_b32 s0, s0, 30
	s_add_i32 s0, s73, s0
	s_mul_i32 s74, s71, s6
	s_ashr_i32 s72, s0, 2
	s_and_b32 s68, s0, -4
.LBB5_1:                                ; =>This Inner Loop Header: Depth=1
	s_add_i32 s69, s69, 1
	s_lshl_b32 s0, 1, s69
	s_cmp_lt_u32 s0, s68
	s_cbranch_scc1 .LBB5_1
; %bb.2:
	s_mov_b32 s70, -1
.LBB5_3:                                ; =>This Inner Loop Header: Depth=1
	s_add_i32 s70, s70, 1
	s_lshl_b32 s0, 1, s70
	s_waitcnt lgkmcnt(0)
	s_cmp_lt_u32 s0, s33
	s_cbranch_scc1 .LBB5_3
; %bb.4:
	s_lshl_b64 s[0:1], 1, s69
	s_mov_b32 s6, 0
	s_sub_i32 s7, s0, s68
	s_cmp_lg_u64 s[6:7], 0
	s_cbranch_scc0 .LBB5_131
; %bb.5:
	v_cvt_f32_u32_e32 v1, s68
	v_mov_b32_e32 v2, 0x4f800000
	s_sub_u32 s6, 0, s68
	s_subb_u32 s10, 0, 0
	v_fmac_f32_e32 v1, 0, v2
	v_rcp_f32_e32 v1, v1
	s_nop 0
	v_mul_f32_e32 v1, 0x5f7ffffc, v1
	v_mul_f32_e32 v2, 0x2f800000, v1
	v_trunc_f32_e32 v2, v2
	v_fmamk_f32 v1, v2, 0xcf800000, v1
	v_cvt_u32_f32_e32 v2, v2
	v_cvt_u32_f32_e32 v1, v1
	v_readfirstlane_b32 s11, v2
	v_readfirstlane_b32 s8, v1
	s_mul_i32 s9, s6, s11
	s_mul_hi_u32 s13, s6, s8
	s_mul_i32 s12, s10, s8
	s_add_i32 s9, s13, s9
	s_add_i32 s9, s9, s12
	s_mul_i32 s14, s6, s8
	s_mul_i32 s13, s8, s9
	s_mul_hi_u32 s15, s8, s14
	s_mul_hi_u32 s12, s8, s9
	s_add_u32 s13, s15, s13
	s_addc_u32 s12, 0, s12
	s_mul_hi_u32 s16, s11, s14
	s_mul_i32 s14, s11, s14
	s_add_u32 s13, s13, s14
	s_mul_hi_u32 s15, s11, s9
	s_addc_u32 s12, s12, s16
	s_addc_u32 s13, s15, 0
	s_mul_i32 s9, s11, s9
	s_add_u32 s9, s12, s9
	s_addc_u32 s12, 0, s13
	s_add_u32 s13, s8, s9
	s_cselect_b64 s[8:9], -1, 0
	s_cmp_lg_u64 s[8:9], 0
	s_addc_u32 s11, s11, s12
	s_mul_i32 s8, s6, s11
	s_mul_hi_u32 s9, s6, s13
	s_add_i32 s8, s9, s8
	s_mul_i32 s10, s10, s13
	s_add_i32 s8, s8, s10
	s_mul_i32 s6, s6, s13
	s_mul_hi_u32 s10, s11, s6
	s_mul_i32 s12, s11, s6
	s_mul_i32 s15, s13, s8
	s_mul_hi_u32 s6, s13, s6
	s_mul_hi_u32 s14, s13, s8
	s_add_u32 s6, s6, s15
	s_addc_u32 s14, 0, s14
	s_add_u32 s6, s6, s12
	s_mul_hi_u32 s9, s11, s8
	s_addc_u32 s6, s14, s10
	s_addc_u32 s9, s9, 0
	s_mul_i32 s8, s11, s8
	s_add_u32 s6, s6, s8
	s_addc_u32 s10, 0, s9
	s_add_u32 s6, s13, s6
	s_cselect_b64 s[8:9], -1, 0
	s_cmp_lg_u64 s[8:9], 0
	s_addc_u32 s8, s11, s10
	s_mul_i32 s10, s8, 0
	s_mul_hi_u32 s11, 0, s6
	s_mul_hi_u32 s9, 0, s8
	s_add_u32 s10, s11, s10
	s_addc_u32 s9, 0, s9
	s_mul_hi_u32 s12, s7, s6
	s_mul_i32 s6, s7, s6
	s_add_u32 s6, s10, s6
	s_mul_hi_u32 s11, s7, s8
	s_addc_u32 s6, s9, s12
	s_addc_u32 s9, s11, 0
	s_mul_i32 s8, s7, s8
	s_add_u32 s10, s6, s8
	s_addc_u32 s6, 0, s9
	s_mul_i32 s6, s68, s6
	s_mul_hi_u32 s8, s68, s10
	s_add_u32 s11, s10, 1
	s_add_u32 s12, s10, 2
	s_add_i32 s6, s8, s6
	s_mul_i32 s8, s68, s10
	s_sub_u32 s13, 0, s8
	s_cselect_b64 s[8:9], -1, 0
	s_cmp_lg_u64 s[8:9], 0
	s_subb_u32 s8, s7, s6
	s_sub_u32 s9, s13, s68
	s_cselect_b64 s[6:7], -1, 0
	s_cmp_lg_u64 s[6:7], 0
	s_subb_u32 s6, s8, 0
	s_cmp_ge_u32 s9, s68
	s_cselect_b32 s7, -1, 0
	s_cmp_eq_u32 s6, 0
	s_cselect_b32 s6, s7, -1
	s_cmp_lg_u32 s6, 0
	s_cselect_b32 s6, s12, s11
	s_cmp_ge_u32 s13, s68
	s_cselect_b32 s7, -1, 0
	s_cmp_eq_u32 s8, 0
	s_cselect_b32 s7, s7, -1
	s_cmp_lg_u32 s7, 0
	s_cselect_b32 s58, s6, s10
	s_cbranch_execnz .LBB5_7
.LBB5_6:
	v_cvt_f32_u32_e32 v1, s68
	s_sub_i32 s0, 0, s68
	v_rcp_iflag_f32_e32 v1, v1
	s_nop 0
	v_mul_f32_e32 v1, 0x4f7ffffe, v1
	v_cvt_u32_f32_e32 v1, v1
	s_nop 0
	v_readfirstlane_b32 s1, v1
	s_mul_i32 s0, s0, s1
	s_mul_hi_u32 s0, s1, s0
	s_add_i32 s1, s1, s0
	s_mul_hi_u32 s0, 0, s1
	s_mul_i32 s6, s0, s68
	s_sub_i32 s6, 0, s6
	s_add_i32 s1, s0, 1
	s_sub_i32 s7, s6, s68
	s_cmp_ge_u32 s6, s68
	s_cselect_b32 s0, s1, s0
	s_cselect_b32 s6, s7, s6
	s_add_i32 s1, s0, 1
	s_cmp_ge_u32 s6, s68
	s_cselect_b32 s58, s1, s0
.LBB5_7:
	s_lshl_b64 s[0:1], 1, s70
	s_mov_b32 s6, 0
	s_sub_i32 s7, s0, s33
	s_cmp_lg_u64 s[6:7], 0
	s_cbranch_scc0 .LBB5_132
; %bb.8:
	v_cvt_f32_u32_e32 v1, s33
	v_mov_b32_e32 v2, 0x4f800000
	s_sub_u32 s6, 0, s33
	s_subb_u32 s10, 0, 0
	v_fmac_f32_e32 v1, 0, v2
	v_rcp_f32_e32 v1, v1
	s_nop 0
	v_mul_f32_e32 v1, 0x5f7ffffc, v1
	v_mul_f32_e32 v2, 0x2f800000, v1
	v_trunc_f32_e32 v2, v2
	v_fmamk_f32 v1, v2, 0xcf800000, v1
	v_cvt_u32_f32_e32 v2, v2
	v_cvt_u32_f32_e32 v1, v1
	v_readfirstlane_b32 s11, v2
	v_readfirstlane_b32 s8, v1
	s_mul_i32 s9, s6, s11
	s_mul_hi_u32 s13, s6, s8
	s_mul_i32 s12, s10, s8
	s_add_i32 s9, s13, s9
	s_add_i32 s9, s9, s12
	s_mul_i32 s14, s6, s8
	s_mul_i32 s13, s8, s9
	s_mul_hi_u32 s15, s8, s14
	s_mul_hi_u32 s12, s8, s9
	s_add_u32 s13, s15, s13
	s_addc_u32 s12, 0, s12
	s_mul_hi_u32 s16, s11, s14
	s_mul_i32 s14, s11, s14
	s_add_u32 s13, s13, s14
	s_mul_hi_u32 s15, s11, s9
	s_addc_u32 s12, s12, s16
	s_addc_u32 s13, s15, 0
	s_mul_i32 s9, s11, s9
	s_add_u32 s9, s12, s9
	s_addc_u32 s12, 0, s13
	s_add_u32 s13, s8, s9
	s_cselect_b64 s[8:9], -1, 0
	s_cmp_lg_u64 s[8:9], 0
	s_addc_u32 s11, s11, s12
	s_mul_i32 s8, s6, s11
	s_mul_hi_u32 s9, s6, s13
	s_add_i32 s8, s9, s8
	s_mul_i32 s10, s10, s13
	s_add_i32 s8, s8, s10
	s_mul_i32 s6, s6, s13
	s_mul_hi_u32 s10, s11, s6
	s_mul_i32 s12, s11, s6
	s_mul_i32 s15, s13, s8
	s_mul_hi_u32 s6, s13, s6
	s_mul_hi_u32 s14, s13, s8
	s_add_u32 s6, s6, s15
	s_addc_u32 s14, 0, s14
	s_add_u32 s6, s6, s12
	s_mul_hi_u32 s9, s11, s8
	s_addc_u32 s6, s14, s10
	s_addc_u32 s9, s9, 0
	s_mul_i32 s8, s11, s8
	s_add_u32 s6, s6, s8
	s_addc_u32 s10, 0, s9
	s_add_u32 s6, s13, s6
	s_cselect_b64 s[8:9], -1, 0
	s_cmp_lg_u64 s[8:9], 0
	s_addc_u32 s8, s11, s10
	s_mul_i32 s10, s8, 0
	s_mul_hi_u32 s11, 0, s6
	s_mul_hi_u32 s9, 0, s8
	s_add_u32 s10, s11, s10
	s_addc_u32 s9, 0, s9
	s_mul_hi_u32 s12, s7, s6
	s_mul_i32 s6, s7, s6
	s_add_u32 s6, s10, s6
	s_mul_hi_u32 s11, s7, s8
	s_addc_u32 s6, s9, s12
	s_addc_u32 s9, s11, 0
	s_mul_i32 s8, s7, s8
	s_add_u32 s10, s6, s8
	s_addc_u32 s6, 0, s9
	s_mul_i32 s6, s33, s6
	s_mul_hi_u32 s8, s33, s10
	s_add_u32 s11, s10, 1
	s_add_u32 s12, s10, 2
	s_add_i32 s6, s8, s6
	s_mul_i32 s8, s33, s10
	s_sub_u32 s13, 0, s8
	s_cselect_b64 s[8:9], -1, 0
	s_cmp_lg_u64 s[8:9], 0
	s_subb_u32 s8, s7, s6
	s_sub_u32 s9, s13, s33
	s_cselect_b64 s[6:7], -1, 0
	s_cmp_lg_u64 s[6:7], 0
	s_subb_u32 s6, s8, 0
	s_cmp_ge_u32 s9, s33
	s_cselect_b32 s7, -1, 0
	s_cmp_eq_u32 s6, 0
	s_cselect_b32 s6, s7, -1
	s_cmp_lg_u32 s6, 0
	s_cselect_b32 s6, s12, s11
	s_cmp_ge_u32 s13, s33
	s_cselect_b32 s7, -1, 0
	s_cmp_eq_u32 s8, 0
	s_cselect_b32 s7, s7, -1
	s_cmp_lg_u32 s7, 0
	s_cselect_b32 s60, s6, s10
	s_cbranch_execnz .LBB5_10
.LBB5_9:
	v_cvt_f32_u32_e32 v1, s33
	s_sub_i32 s0, 0, s33
	v_rcp_iflag_f32_e32 v1, v1
	s_nop 0
	v_mul_f32_e32 v1, 0x4f7ffffe, v1
	v_cvt_u32_f32_e32 v1, v1
	s_nop 0
	v_readfirstlane_b32 s1, v1
	s_mul_i32 s0, s0, s1
	s_mul_hi_u32 s0, s1, s0
	s_add_i32 s1, s1, s0
	s_mul_hi_u32 s0, 0, s1
	s_mul_i32 s6, s0, s33
	s_sub_i32 s6, 0, s6
	s_add_i32 s1, s0, 1
	s_sub_i32 s7, s6, s33
	s_cmp_ge_u32 s6, s33
	s_cselect_b32 s0, s1, s0
	s_cselect_b32 s6, s7, s6
	s_add_i32 s1, s0, 1
	s_cmp_ge_u32 s6, s33
	s_cselect_b32 s60, s1, s0
.LBB5_10:
	v_readfirstlane_b32 s0, v0
	v_mbcnt_lo_u32_b32 v1, -1, 0
	v_mbcnt_hi_u32_b32 v1, -1, v1
	s_lshr_b32 s0, s0, 1
	v_lshrrev_b32_e32 v2, 1, v1
	s_and_b32 s0, s0, 0x60
	v_add_u32_e32 v3, s0, v2
	v_cmp_le_i32_e32 vcc, s42, v3
	v_lshlrev_b32_e32 v7, 2, v1
	s_and_saveexec_b64 s[0:1], vcc
	s_xor_b64 s[0:1], exec, s[0:1]
; %bb.11:
	v_lshlrev_b32_e32 v7, 2, v1
                                        ; implicit-def: $vgpr3
; %bb.12:
	s_or_saveexec_b64 s[0:1], s[0:1]
	s_add_i32 s61, s42, -1
	s_lshl_b32 s59, s71, 3
	v_mov_b32_e32 v8, 0
	v_mov_b32_e32 v9, 0
	v_mov_b32_e32 v10, 0
	v_mov_b32_e32 v11, 0
	s_xor_b64 exec, exec, s[0:1]
	s_cbranch_execz .LBB5_14
; %bb.13:
	s_mul_hi_i32 s9, s45, s3
	s_mul_i32 s8, s45, s3
	s_lshl_b64 s[8:9], s[8:9], 2
	s_mul_hi_i32 s7, s50, s4
	s_mul_i32 s6, s50, s4
	s_add_u32 s8, s36, s8
	s_addc_u32 s9, s37, s9
	s_lshl_b64 s[6:7], s[6:7], 2
	s_add_u32 s8, s8, s6
	s_mul_i32 s6, s54, s61
	s_addc_u32 s9, s9, s7
	s_add_i32 s6, s6, s40
	v_mul_lo_u32 v3, v3, s54
	v_and_or_b32 v4, v7, 4, s59
	s_lshl_b32 s10, s6, 2
	s_mov_b32 s11, 0x20000
	v_add_lshl_u32 v3, v4, v3, 2
	buffer_load_dwordx4 v[8:11], v3, s[8:11], 0 offen
.LBB5_14:
	s_or_b64 exec, exec, s[0:1]
	v_readfirstlane_b32 s0, v0
	s_lshr_b32 s0, s0, 1
	v_and_b32_e32 v3, 1, v1
	s_and_b32 s0, s0, 0x60
	v_mov_b32_e32 v4, 0x810
	v_cmp_eq_u32_e32 vcc, 1, v3
	v_add_u32_e32 v2, s0, v2
	s_nop 0
	v_cndmask_b32_e32 v3, 0, v4, vcc
	v_lshl_add_u32 v2, v2, 4, v3
	s_waitcnt vmcnt(0)
	ds_write_b128 v2, v[8:11]
	; sched_barrier mask(0x00000000)
	v_lshlrev_b32_e32 v3, 1, v1
	v_and_b32_e32 v31, 0xf0, v3
	v_cmp_gt_i32_e32 vcc, s42, v31
	v_mov_b32_e32 v35, 0xff800000
	v_bfe_i32 v2, v1, 2, 1
	v_and_b32_e32 v9, 3, v1
	v_mov_b32_e32 v37, 0xff800000
	s_waitcnt lgkmcnt(0)
	s_barrier
	s_and_saveexec_b64 s[0:1], vcc
; %bb.15:
	v_and_b32_e32 v4, 0x810, v2
	v_lshl_add_u32 v4, v31, 4, v4
	v_lshl_or_b32 v4, v9, 2, v4
	ds_read_b32 v37, v4
; %bb.16:
	s_or_b64 exec, exec, s[0:1]
	v_or_b32_e32 v28, 1, v31
	v_cmp_gt_i32_e64 s[0:1], s42, v28
	s_and_saveexec_b64 s[6:7], s[0:1]
; %bb.17:
	v_and_b32_e32 v4, 0x810, v2
	v_lshl_add_u32 v4, v28, 4, v4
	v_lshl_or_b32 v4, v9, 2, v4
	ds_read_b32 v35, v4
; %bb.18:
	s_or_b64 exec, exec, s[6:7]
	v_or_b32_e32 v26, 2, v31
	v_cmp_gt_i32_e64 s[34:35], s42, v26
	v_mov_b32_e32 v33, 0xff800000
	v_mov_b32_e32 v36, 0xff800000
	s_and_saveexec_b64 s[6:7], s[34:35]
; %bb.19:
	v_and_b32_e32 v4, 0x810, v2
	v_lshl_add_u32 v4, v26, 4, v4
	v_lshl_or_b32 v4, v9, 2, v4
	ds_read_b32 v36, v4
; %bb.20:
	s_or_b64 exec, exec, s[6:7]
	v_or_b32_e32 v23, 3, v31
	v_cmp_gt_i32_e64 s[30:31], s42, v23
	s_and_saveexec_b64 s[6:7], s[30:31]
; %bb.21:
	v_and_b32_e32 v4, 0x810, v2
	v_lshl_add_u32 v4, v23, 4, v4
	v_lshl_or_b32 v4, v9, 2, v4
	ds_read_b32 v33, v4
; %bb.22:
	s_or_b64 exec, exec, s[6:7]
	v_or_b32_e32 v19, 4, v31
	v_cmp_gt_i32_e64 s[6:7], s42, v19
	v_mov_b32_e32 v30, 0xff800000
	v_mov_b32_e32 v34, 0xff800000
	s_and_saveexec_b64 s[8:9], s[6:7]
	;; [unrolled: 22-line block ×7, first 2 shown]
; %bb.43:
	v_and_b32_e32 v18, 0x810, v2
	v_lshl_add_u32 v18, v4, 4, v18
	v_lshl_or_b32 v18, v9, 2, v18
	ds_read_b32 v18, v18
; %bb.44:
	s_or_b64 exec, exec, s[28:29]
	v_or_b32_e32 v3, 15, v3
	v_cmp_gt_i32_e64 s[28:29], s42, v3
	s_and_saveexec_b64 s[36:37], s[28:29]
; %bb.45:
	v_and_b32_e32 v15, 0x810, v2
	v_lshl_add_u32 v15, v3, 4, v15
	v_lshl_or_b32 v15, v9, 2, v15
	ds_read_b32 v15, v15
; %bb.46:
	s_or_b64 exec, exec, s[36:37]
	s_mov_b32 s45, 0xff800000
	s_waitcnt lgkmcnt(0)
	v_max3_f32 v22, v37, s45, v35
	v_max3_f32 v22, v22, v36, v33
	;; [unrolled: 1-line block ×8, first 2 shown]
	ds_bpermute_b32 v38, v7, v22 offset:128
	v_add_u32_e32 v40, 0x80, v7
	v_add_u32_e32 v39, 64, v7
	s_waitcnt lgkmcnt(0)
	v_max_f32_e32 v38, v38, v38
	v_max_f32_e32 v22, v22, v38
	ds_bpermute_b32 v38, v7, v22 offset:64
	s_waitcnt lgkmcnt(0)
	v_max_f32_e32 v38, v38, v38
	v_max_f32_e32 v22, v22, v38
	ds_bpermute_b32 v41, v7, v22 offset:32
	v_add_u32_e32 v38, 32, v7
	s_waitcnt lgkmcnt(0)
	v_max_f32_e32 v41, v41, v41
	v_max_f32_e32 v22, v22, v41
	v_cmp_neq_f32_e64 s[36:37], s45, v22
	v_mov_b32_e32 v41, 0
	s_and_saveexec_b64 s[62:63], s[36:37]
	s_cbranch_execz .LBB5_48
; %bb.47:
	v_sub_f32_e32 v41, v37, v22
	s_mov_b32 s64, 0x3fb8aa3b
	v_mul_f32_e32 v42, 0x3fb8aa3b, v41
	v_fma_f32 v43, v41, s64, -v42
	v_rndne_f32_e32 v44, v42
	v_fmac_f32_e32 v43, 0x32a5705f, v41
	v_sub_f32_e32 v42, v42, v44
	v_add_f32_e32 v42, v42, v43
	v_exp_f32_e32 v42, v42
	v_cvt_i32_f32_e32 v43, v44
	s_mov_b32 s50, 0xc2ce8ed0
	v_cmp_ngt_f32_e64 s[36:37], s50, v41
	s_mov_b32 s54, 0x42b17218
	v_ldexp_f32 v42, v42, v43
	v_sub_f32_e32 v43, v35, v22
	v_mul_f32_e32 v44, 0x3fb8aa3b, v43
	v_fma_f32 v45, v43, s64, -v44
	v_rndne_f32_e32 v46, v44
	v_fmac_f32_e32 v45, 0x32a5705f, v43
	v_sub_f32_e32 v44, v44, v46
	v_add_f32_e32 v44, v44, v45
	v_exp_f32_e32 v44, v44
	v_cvt_i32_f32_e32 v45, v46
	v_cndmask_b32_e64 v42, 0, v42, s[36:37]
	v_mov_b32_e32 v46, 0x7f800000
	v_cmp_nlt_f32_e64 s[36:37], s54, v41
	s_nop 1
	v_cndmask_b32_e64 v41, v46, v42, s[36:37]
	v_ldexp_f32 v42, v44, v45
	v_sub_f32_e32 v44, v36, v22
	v_mul_f32_e32 v45, 0x3fb8aa3b, v44
	v_fma_f32 v47, v44, s64, -v45
	v_rndne_f32_e32 v48, v45
	v_fmac_f32_e32 v47, 0x32a5705f, v44
	v_sub_f32_e32 v45, v45, v48
	v_add_f32_e32 v45, v45, v47
	v_exp_f32_e32 v45, v45
	v_cvt_i32_f32_e32 v47, v48
	v_cmp_ngt_f32_e64 s[36:37], s50, v43
	s_nop 1
	v_cndmask_b32_e64 v42, 0, v42, s[36:37]
	v_cmp_nlt_f32_e64 s[36:37], s54, v43
	v_ldexp_f32 v43, v45, v47
	v_sub_f32_e32 v45, v33, v22
	v_mul_f32_e32 v47, 0x3fb8aa3b, v45
	v_fma_f32 v48, v45, s64, -v47
	v_rndne_f32_e32 v49, v47
	v_fmac_f32_e32 v48, 0x32a5705f, v45
	v_sub_f32_e32 v47, v47, v49
	v_add_f32_e32 v47, v47, v48
	v_exp_f32_e32 v47, v47
	v_cvt_i32_f32_e32 v48, v49
	v_cndmask_b32_e64 v42, v46, v42, s[36:37]
	v_cmp_ngt_f32_e64 s[36:37], s50, v44
	v_add_f32_e32 v41, v41, v42
	s_nop 0
	v_cndmask_b32_e64 v43, 0, v43, s[36:37]
	v_cmp_nlt_f32_e64 s[36:37], s54, v44
	v_ldexp_f32 v44, v47, v48
	v_sub_f32_e32 v47, v34, v22
	v_mul_f32_e32 v48, 0x3fb8aa3b, v47
	v_fma_f32 v49, v47, s64, -v48
	v_rndne_f32_e32 v50, v48
	v_fmac_f32_e32 v49, 0x32a5705f, v47
	v_sub_f32_e32 v48, v48, v50
	v_add_f32_e32 v48, v48, v49
	v_exp_f32_e32 v48, v48
	v_cvt_i32_f32_e32 v49, v50
	v_cndmask_b32_e64 v43, v46, v43, s[36:37]
	v_cmp_ngt_f32_e64 s[36:37], s50, v45
	v_add_f32_e32 v41, v43, v41
	;; [unrolled: 16-line block ×13, first 2 shown]
	s_nop 0
	v_cndmask_b32_e64 v56, 0, v56, s[36:37]
	v_cmp_nlt_f32_e64 s[36:37], s54, v57
	v_ldexp_f32 v57, v59, v60
	s_nop 0
	v_cndmask_b32_e64 v56, v46, v56, s[36:37]
	v_cmp_ngt_f32_e64 s[36:37], s50, v58
	v_add_f32_e32 v41, v56, v41
	s_nop 0
	v_cndmask_b32_e64 v57, 0, v57, s[36:37]
	v_cmp_nlt_f32_e64 s[36:37], s54, v58
	s_nop 1
	v_cndmask_b32_e64 v46, v46, v57, s[36:37]
	v_add_f32_e32 v41, v46, v41
.LBB5_48:
	s_or_b64 exec, exec, s[62:63]
	ds_bpermute_b32 v40, v40, v41
	s_mov_b32 s36, 0x3f317217
	s_mov_b32 s37, 0x7f800000
	s_mov_b64 s[64:65], 0
	s_waitcnt lgkmcnt(0)
	v_add_f32_e32 v40, v41, v40
	ds_bpermute_b32 v39, v39, v40
	s_barrier
	s_waitcnt lgkmcnt(0)
	v_add_f32_e32 v39, v40, v39
	ds_bpermute_b32 v38, v38, v39
	v_mov_b32_e32 v40, 0xff800000
	s_waitcnt lgkmcnt(0)
	v_add_f32_e32 v38, v39, v38
	v_log_f32_e32 v39, v38
	s_nop 0
	v_mul_f32_e32 v41, 0x3f317217, v39
	v_fma_f32 v41, v39, s36, -v41
	v_fmamk_f32 v41, v39, 0x3377d1cf, v41
	v_fmac_f32_e32 v41, 0x3f317217, v39
	v_cmp_lt_f32_e64 s[36:37], |v39|, s37
	s_nop 1
	v_cndmask_b32_e64 v39, v39, v41, s[36:37]
	v_add_f32_e32 v22, v22, v39
	v_cmp_neq_f32_e64 s[36:37], 0, v38
                                        ; implicit-def: $vgpr39
                                        ; implicit-def: $vgpr38
	s_nop 1
	v_cndmask_b32_e64 v22, v40, v22, s[36:37]
	v_cmp_neq_f32_e64 s[36:37], s45, v22
	s_and_saveexec_b64 s[62:63], s[36:37]
	s_xor_b64 s[62:63], exec, s[62:63]
	s_cbranch_execz .LBB5_82
; %bb.49:
	s_and_saveexec_b64 s[64:65], vcc
	s_cbranch_execz .LBB5_103
; %bb.50:
	v_sub_f32_e32 v37, v37, v22
	s_mov_b32 s36, 0x3fb8aa3b
	v_mul_f32_e32 v38, 0x3fb8aa3b, v37
	v_fma_f32 v39, v37, s36, -v38
	v_rndne_f32_e32 v40, v38
	v_fmamk_f32 v39, v37, 0x32a5705f, v39
	v_sub_f32_e32 v38, v38, v40
	v_add_f32_e32 v38, v38, v39
	v_exp_f32_e32 v38, v38
	v_cvt_i32_f32_e32 v39, v40
	s_mov_b32 s36, 0xc2ce8ed0
	v_cmp_ngt_f32_e64 s[36:37], s36, v37
	v_ldexp_f32 v38, v38, v39
	s_nop 0
	v_cndmask_b32_e64 v38, 0, v38, s[36:37]
	s_mov_b32 s36, 0x42b17218
	v_mov_b32_e32 v39, 0x7f800000
	v_cmp_nlt_f32_e64 s[36:37], s36, v37
	s_nop 1
	v_cndmask_b32_e64 v37, v39, v38, s[36:37]
	v_and_b32_e32 v38, 0x810, v2
	v_lshl_add_u32 v31, v31, 4, v38
	v_lshl_or_b32 v31, v9, 2, v31
	ds_write_b32 v31, v37
	s_or_b64 exec, exec, s[64:65]
	s_and_saveexec_b64 s[64:65], s[0:1]
	s_cbranch_execnz .LBB5_104
.LBB5_51:
	s_or_b64 exec, exec, s[64:65]
	s_and_saveexec_b64 s[64:65], s[34:35]
	s_cbranch_execz .LBB5_105
.LBB5_52:
	v_sub_f32_e32 v28, v36, v22
	s_mov_b32 s36, 0x3fb8aa3b
	v_mul_f32_e32 v31, 0x3fb8aa3b, v28
	v_fma_f32 v35, v28, s36, -v31
	v_rndne_f32_e32 v36, v31
	v_fmamk_f32 v35, v28, 0x32a5705f, v35
	v_sub_f32_e32 v31, v31, v36
	v_add_f32_e32 v31, v31, v35
	v_exp_f32_e32 v31, v31
	v_cvt_i32_f32_e32 v35, v36
	s_mov_b32 s36, 0xc2ce8ed0
	v_cmp_ngt_f32_e64 s[36:37], s36, v28
	v_ldexp_f32 v31, v31, v35
	s_nop 0
	v_cndmask_b32_e64 v31, 0, v31, s[36:37]
	s_mov_b32 s36, 0x42b17218
	v_mov_b32_e32 v35, 0x7f800000
	v_cmp_nlt_f32_e64 s[36:37], s36, v28
	s_nop 1
	v_cndmask_b32_e64 v28, v35, v31, s[36:37]
	v_and_b32_e32 v31, 0x810, v2
	v_lshl_add_u32 v26, v26, 4, v31
	v_lshl_or_b32 v26, v9, 2, v26
	ds_write_b32 v26, v28
	s_or_b64 exec, exec, s[64:65]
	s_and_saveexec_b64 s[64:65], s[30:31]
	s_cbranch_execnz .LBB5_106
.LBB5_53:
	s_or_b64 exec, exec, s[64:65]
	s_and_saveexec_b64 s[64:65], s[6:7]
	s_cbranch_execz .LBB5_107
.LBB5_54:
	v_sub_f32_e32 v23, v34, v22
	s_mov_b32 s36, 0x3fb8aa3b
	v_mul_f32_e32 v26, 0x3fb8aa3b, v23
	v_fma_f32 v28, v23, s36, -v26
	v_rndne_f32_e32 v31, v26
	v_fmamk_f32 v28, v23, 0x32a5705f, v28
	v_sub_f32_e32 v26, v26, v31
	v_add_f32_e32 v26, v26, v28
	v_exp_f32_e32 v26, v26
	v_cvt_i32_f32_e32 v28, v31
	s_mov_b32 s36, 0xc2ce8ed0
	v_cmp_ngt_f32_e64 s[36:37], s36, v23
	v_ldexp_f32 v26, v26, v28
	s_nop 0
	v_cndmask_b32_e64 v26, 0, v26, s[36:37]
	s_mov_b32 s36, 0x42b17218
	v_mov_b32_e32 v28, 0x7f800000
	v_cmp_nlt_f32_e64 s[36:37], s36, v23
	s_nop 1
	v_cndmask_b32_e64 v23, v28, v26, s[36:37]
	v_and_b32_e32 v26, 0x810, v2
	v_lshl_add_u32 v19, v19, 4, v26
	v_lshl_or_b32 v19, v9, 2, v19
	ds_write_b32 v19, v23
	s_or_b64 exec, exec, s[64:65]
	s_and_saveexec_b64 s[64:65], s[8:9]
	s_cbranch_execnz .LBB5_108
.LBB5_55:
	s_or_b64 exec, exec, s[64:65]
	s_and_saveexec_b64 s[64:65], s[10:11]
	s_cbranch_execz .LBB5_109
.LBB5_56:
	v_sub_f32_e32 v16, v32, v22
	s_mov_b32 s36, 0x3fb8aa3b
	v_mul_f32_e32 v19, 0x3fb8aa3b, v16
	v_fma_f32 v23, v16, s36, -v19
	v_rndne_f32_e32 v26, v19
	v_fmamk_f32 v23, v16, 0x32a5705f, v23
	v_sub_f32_e32 v19, v19, v26
	v_add_f32_e32 v19, v19, v23
	v_exp_f32_e32 v19, v19
	v_cvt_i32_f32_e32 v23, v26
	s_mov_b32 s36, 0xc2ce8ed0
	v_cmp_ngt_f32_e64 s[36:37], s36, v16
	v_ldexp_f32 v19, v19, v23
	s_nop 0
	v_cndmask_b32_e64 v19, 0, v19, s[36:37]
	s_mov_b32 s36, 0x42b17218
	v_mov_b32_e32 v23, 0x7f800000
	v_cmp_nlt_f32_e64 s[36:37], s36, v16
	s_nop 1
	v_cndmask_b32_e64 v16, v23, v19, s[36:37]
	v_and_b32_e32 v19, 0x810, v2
	v_lshl_add_u32 v14, v14, 4, v19
	v_lshl_or_b32 v14, v9, 2, v14
	ds_write_b32 v14, v16
	s_or_b64 exec, exec, s[64:65]
	s_and_saveexec_b64 s[64:65], s[12:13]
	s_cbranch_execnz .LBB5_110
.LBB5_57:
	s_or_b64 exec, exec, s[64:65]
	s_and_saveexec_b64 s[64:65], s[14:15]
	s_cbranch_execz .LBB5_111
.LBB5_58:
	v_sub_f32_e32 v13, v29, v22
	s_mov_b32 s36, 0x3fb8aa3b
	v_mul_f32_e32 v14, 0x3fb8aa3b, v13
	v_fma_f32 v16, v13, s36, -v14
	v_rndne_f32_e32 v19, v14
	v_fmamk_f32 v16, v13, 0x32a5705f, v16
	v_sub_f32_e32 v14, v14, v19
	v_add_f32_e32 v14, v14, v16
	v_exp_f32_e32 v14, v14
	v_cvt_i32_f32_e32 v16, v19
	s_mov_b32 s36, 0xc2ce8ed0
	v_cmp_ngt_f32_e64 s[36:37], s36, v13
	v_ldexp_f32 v14, v14, v16
	s_nop 0
	v_cndmask_b32_e64 v14, 0, v14, s[36:37]
	s_mov_b32 s36, 0x42b17218
	v_mov_b32_e32 v16, 0x7f800000
	v_cmp_nlt_f32_e64 s[36:37], s36, v13
	s_nop 1
	v_cndmask_b32_e64 v13, v16, v14, s[36:37]
	v_and_b32_e32 v14, 0x810, v2
	v_lshl_add_u32 v12, v12, 4, v14
	v_lshl_or_b32 v12, v9, 2, v12
	ds_write_b32 v12, v13
	s_or_b64 exec, exec, s[64:65]
	s_and_saveexec_b64 s[64:65], s[16:17]
	s_cbranch_execnz .LBB5_112
.LBB5_59:
	s_or_b64 exec, exec, s[64:65]
	s_and_saveexec_b64 s[64:65], s[18:19]
	s_cbranch_execz .LBB5_113
.LBB5_60:
	v_sub_f32_e32 v11, v25, v22
	s_mov_b32 s36, 0x3fb8aa3b
	v_mul_f32_e32 v12, 0x3fb8aa3b, v11
	v_fma_f32 v13, v11, s36, -v12
	v_rndne_f32_e32 v14, v12
	v_fmamk_f32 v13, v11, 0x32a5705f, v13
	v_sub_f32_e32 v12, v12, v14
	v_add_f32_e32 v12, v12, v13
	v_exp_f32_e32 v12, v12
	v_cvt_i32_f32_e32 v13, v14
	s_mov_b32 s36, 0xc2ce8ed0
	v_cmp_ngt_f32_e64 s[36:37], s36, v11
	v_ldexp_f32 v12, v12, v13
	s_nop 0
	v_cndmask_b32_e64 v12, 0, v12, s[36:37]
	s_mov_b32 s36, 0x42b17218
	v_mov_b32_e32 v13, 0x7f800000
	v_cmp_nlt_f32_e64 s[36:37], s36, v11
	s_nop 1
	v_cndmask_b32_e64 v11, v13, v12, s[36:37]
	v_and_b32_e32 v12, 0x810, v2
	v_lshl_add_u32 v10, v10, 4, v12
	v_lshl_or_b32 v10, v9, 2, v10
	ds_write_b32 v10, v11
	s_or_b64 exec, exec, s[64:65]
	s_and_saveexec_b64 s[64:65], s[20:21]
	s_cbranch_execnz .LBB5_114
.LBB5_61:
	s_or_b64 exec, exec, s[64:65]
	s_and_saveexec_b64 s[64:65], s[22:23]
	s_cbranch_execz .LBB5_115
.LBB5_62:
	v_sub_f32_e32 v8, v21, v22
	s_mov_b32 s36, 0x3fb8aa3b
	v_mul_f32_e32 v10, 0x3fb8aa3b, v8
	v_fma_f32 v11, v8, s36, -v10
	v_rndne_f32_e32 v12, v10
	v_fmamk_f32 v11, v8, 0x32a5705f, v11
	v_sub_f32_e32 v10, v10, v12
	v_add_f32_e32 v10, v10, v11
	v_exp_f32_e32 v10, v10
	v_cvt_i32_f32_e32 v11, v12
	s_mov_b32 s36, 0xc2ce8ed0
	v_cmp_ngt_f32_e64 s[36:37], s36, v8
	v_ldexp_f32 v10, v10, v11
	s_nop 0
	v_cndmask_b32_e64 v10, 0, v10, s[36:37]
	s_mov_b32 s36, 0x42b17218
	v_mov_b32_e32 v11, 0x7f800000
	v_cmp_nlt_f32_e64 s[36:37], s36, v8
	s_nop 1
	v_cndmask_b32_e64 v8, v11, v10, s[36:37]
	v_and_b32_e32 v10, 0x810, v2
	v_lshl_add_u32 v6, v6, 4, v10
	v_lshl_or_b32 v6, v9, 2, v6
	ds_write_b32 v6, v8
	s_or_b64 exec, exec, s[64:65]
	s_and_saveexec_b64 s[64:65], s[24:25]
	s_cbranch_execnz .LBB5_116
.LBB5_63:
	s_or_b64 exec, exec, s[64:65]
	s_and_saveexec_b64 s[64:65], s[26:27]
	s_cbranch_execz .LBB5_65
.LBB5_64:
	v_sub_f32_e32 v5, v18, v22
	s_mov_b32 s36, 0x3fb8aa3b
	v_mul_f32_e32 v6, 0x3fb8aa3b, v5
	v_fma_f32 v8, v5, s36, -v6
	v_rndne_f32_e32 v10, v6
	v_fmamk_f32 v8, v5, 0x32a5705f, v8
	v_sub_f32_e32 v6, v6, v10
	v_add_f32_e32 v6, v6, v8
	v_exp_f32_e32 v6, v6
	v_cvt_i32_f32_e32 v8, v10
	s_mov_b32 s36, 0xc2ce8ed0
	v_cmp_ngt_f32_e64 s[36:37], s36, v5
	v_ldexp_f32 v6, v6, v8
	s_nop 0
	v_cndmask_b32_e64 v6, 0, v6, s[36:37]
	s_mov_b32 s36, 0x42b17218
	v_mov_b32_e32 v8, 0x7f800000
	v_cmp_nlt_f32_e64 s[36:37], s36, v5
	s_nop 1
	v_cndmask_b32_e64 v5, v8, v6, s[36:37]
	v_and_b32_e32 v6, 0x810, v2
	v_lshl_add_u32 v4, v4, 4, v6
	v_lshl_or_b32 v4, v9, 2, v4
	ds_write_b32 v4, v5
.LBB5_65:
	s_or_b64 exec, exec, s[64:65]
	s_mov_b64 s[64:65], 0
                                        ; implicit-def: $vgpr39
                                        ; implicit-def: $vgpr38
	s_and_saveexec_b64 s[36:37], s[28:29]
	s_xor_b64 s[66:67], exec, s[36:37]
	s_cbranch_execz .LBB5_67
; %bb.66:
	v_sub_f32_e32 v4, v15, v22
	s_mov_b32 s36, 0x3fb8aa3b
	v_mul_f32_e32 v5, 0x3fb8aa3b, v4
	v_fma_f32 v6, v4, s36, -v5
	v_rndne_f32_e32 v8, v5
	v_fmamk_f32 v6, v4, 0x32a5705f, v6
	v_sub_f32_e32 v5, v5, v8
	v_add_f32_e32 v5, v5, v6
	v_exp_f32_e32 v5, v5
	v_cvt_i32_f32_e32 v6, v8
	s_mov_b32 s36, 0xc2ce8ed0
	v_cmp_ngt_f32_e64 s[36:37], s36, v4
	v_and_b32_e32 v2, 0x204, v2
	v_ldexp_f32 v5, v5, v6
	v_cndmask_b32_e64 v5, 0, v5, s[36:37]
	s_mov_b32 s36, 0x42b17218
	v_mov_b32_e32 v6, 0x7f800000
	v_cmp_nlt_f32_e64 s[36:37], s36, v4
	v_lshl_add_u32 v2, v3, 2, v2
	s_mov_b64 s[64:65], exec
	v_cndmask_b32_e64 v39, v6, v5, s[36:37]
	v_and_or_b32 v38, v1, 3, v2
.LBB5_67:
	s_or_b64 exec, exec, s[66:67]
	s_and_b64 s[64:65], s[64:65], exec
                                        ; implicit-def: $vgpr31
                                        ; implicit-def: $vgpr28
                                        ; implicit-def: $vgpr26
                                        ; implicit-def: $vgpr23
                                        ; implicit-def: $vgpr19
                                        ; implicit-def: $vgpr16
                                        ; implicit-def: $vgpr14
                                        ; implicit-def: $vgpr13
                                        ; implicit-def: $vgpr12
                                        ; implicit-def: $vgpr11
                                        ; implicit-def: $vgpr10
                                        ; implicit-def: $vgpr8
                                        ; implicit-def: $vgpr6
                                        ; implicit-def: $vgpr5
                                        ; implicit-def: $vgpr4
                                        ; implicit-def: $vgpr3
                                        ; implicit-def: $vgpr2
	s_andn2_saveexec_b64 s[36:37], s[62:63]
	s_cbranch_execnz .LBB5_83
.LBB5_68:
	s_or_b64 exec, exec, s[36:37]
	s_and_saveexec_b64 s[0:1], s[64:65]
.LBB5_69:
	v_lshlrev_b32_e32 v2, 2, v38
	ds_write_b32 v2, v39
.LBB5_70:
	s_or_b64 exec, exec, s[0:1]
	s_mul_hi_i32 s7, s48, s3
	s_mul_i32 s6, s48, s3
	s_lshl_b64 s[6:7], s[6:7], 2
	s_mul_hi_i32 s1, s49, s4
	s_mul_i32 s0, s49, s4
	s_add_u32 s6, s56, s6
	s_addc_u32 s7, s57, s7
	s_lshl_b64 s[0:1], s[0:1], 2
	s_add_u32 s8, s6, s0
	v_and_b32_e32 v6, 7, v1
	s_addc_u32 s9, s7, s1
	s_sub_i32 s0, s2, s74
	v_or_b32_e32 v2, s59, v6
	s_add_i32 s6, s40, -1
	s_lshl_b32 s2, s0, 5
	s_lshl_b32 s10, s40, 2
	s_mov_b32 s11, 0x20000
	v_lshlrev_b32_e32 v2, 2, v2
	s_mov_b32 s7, 0
	v_readfirstlane_b32 s0, v0
	v_lshrrev_b32_e32 v14, 3, v1
	buffer_store_dword v22, v2, s[8:11], 0 offen
	; sched_barrier mask(0x00000000)
	v_mov_b32_e32 v5, 0
	s_cmp_lt_i32 s73, 4
	v_mov_b32_e32 v4, v5
	v_mov_b32_e32 v3, v5
	;; [unrolled: 1-line block ×3, first 2 shown]
	s_waitcnt lgkmcnt(0)
	s_barrier
	s_cbranch_scc1 .LBB5_102
; %bb.71:
	s_mul_i32 s9, s43, s6
	s_mul_i32 s72, s72, s71
	;; [unrolled: 1-line block ×3, first 2 shown]
	s_add_i32 s9, s9, s41
	s_mul_hi_i32 s15, s46, s3
	s_mul_i32 s14, s46, s3
	s_add_i32 s12, s60, 1
	s_add_i32 s13, s58, 1
	s_lshl_b32 s1, s72, 5
	s_add_i32 s10, s9, s8
	s_lshl_b64 s[14:15], s[14:15], 2
	s_mul_hi_i32 s9, s51, s4
	s_mul_i32 s8, s51, s4
	s_add_u32 s14, s38, s14
	s_addc_u32 s15, s39, s15
	s_lshl_b64 s[8:9], s[8:9], 2
	s_add_u32 s8, s14, s8
	s_addc_u32 s9, s15, s9
	s_lshr_b32 s0, s0, 3
	s_and_b32 s0, s0, 0x1ffffff8
	s_add_i32 s0, s0, s1
	v_add_u32_e32 v15, s0, v14
	v_mul_hi_u32 v2, s12, v15
	v_add_u32_e32 v2, v15, v2
	v_lshrrev_b32_e32 v2, s70, v2
	v_mul_hi_u32 v3, s13, v2
	v_add_u32_e32 v3, v2, v3
	v_lshrrev_b32_e32 v18, s69, v3
	v_mul_lo_u32 v3, v18, s68
	v_sub_u32_e32 v20, v2, v3
	v_mul_lo_u32 v2, v2, s33
	v_sub_u32_e32 v8, v15, v2
	v_mad_u64_u32 v[2:3], s[0:1], v18, s33, v[8:9]
	v_lshl_or_b32 v4, v6, 2, s2
	v_mul_lo_u32 v5, v20, s55
	v_mul_lo_u32 v2, v2, s43
	v_add3_u32 v16, v4, v5, v2
	v_mov_b32_e32 v2, 0
	s_lshl_b32 s10, s10, 2
	v_bfe_u32 v17, v1, 3, 2
	v_add_u32_e32 v6, 32, v15
	s_sub_i32 s14, 0, s33
	s_movk_i32 s15, 0x810
	v_mov_b32_e32 v19, v20
	v_mov_b32_e32 v3, v2
	;; [unrolled: 1-line block ×4, first 2 shown]
.LBB5_72:                               ; =>This Inner Loop Header: Depth=1
	v_cmp_gt_i32_e32 vcc, s42, v19
	v_lshlrev_b32_e32 v21, 2, v16
	v_mov_b32_e32 v10, 0
	s_and_saveexec_b64 s[0:1], vcc
	s_cbranch_execz .LBB5_74
; %bb.73:                               ;   in Loop: Header=BB5_72 Depth=1
	buffer_load_dword v10, v21, s[8:11], 0 offen
.LBB5_74:                               ;   in Loop: Header=BB5_72 Depth=1
	s_or_b64 exec, exec, s[0:1]
	v_mov_b32_e32 v12, 0
	v_mov_b32_e32 v11, 0
	s_and_saveexec_b64 s[0:1], vcc
	s_cbranch_execz .LBB5_80
; %bb.75:                               ;   in Loop: Header=BB5_72 Depth=1
	buffer_load_dword v11, v21, s[8:11], 0 offen offset:4
	s_or_b64 exec, exec, s[0:1]
	s_and_saveexec_b64 s[0:1], vcc
	s_cbranch_execnz .LBB5_81
.LBB5_76:                               ;   in Loop: Header=BB5_72 Depth=1
	s_or_b64 exec, exec, s[0:1]
	v_mov_b32_e32 v13, 0
	s_and_saveexec_b64 s[0:1], vcc
	s_cbranch_execz .LBB5_78
.LBB5_77:                               ;   in Loop: Header=BB5_72 Depth=1
	buffer_load_dword v13, v21, s[8:11], 0 offen offset:12
.LBB5_78:                               ;   in Loop: Header=BB5_72 Depth=1
	s_or_b64 exec, exec, s[0:1]
	v_readfirstlane_b32 s0, v0
	s_lshr_b32 s1, s0, 6
	s_lshr_b32 s0, s0, 3
	s_and_b32 s0, s0, 0x1ffffff8
	v_add_u32_e32 v21, s0, v14
	s_lshl_b32 s0, s1, 3
	v_subrev_u32_e32 v21, s0, v21
	v_lshrrev_b32_e32 v21, 2, v21
	s_add_i32 s16, s7, s1
	v_mul_lo_u32 v21, v21, s15
	v_lshl_add_u32 v21, s16, 4, v21
	v_lshl_or_b32 v21, v17, 2, v21
	ds_read_b32 v22, v21
	v_add_u32_e32 v15, 32, v15
	s_add_i32 s7, s7, 4
	s_cmp_lt_i32 s7, s68
	s_waitcnt vmcnt(0) lgkmcnt(0)
	v_pk_fma_f32 v[2:3], v[10:11], v[22:23], v[2:3] op_sel_hi:[1,0,1]
	v_mul_hi_u32 v10, s12, v6
	v_add_u32_e32 v10, v15, v10
	v_pk_fma_f32 v[4:5], v[12:13], v[22:23], v[4:5] op_sel_hi:[1,0,1]
	v_lshrrev_b32_e32 v13, s70, v10
	v_mad_u64_u32 v[10:11], s[0:1], s14, v13, v[6:7]
	v_mul_hi_u32 v11, s13, v13
	v_add_u32_e32 v11, v13, v11
	v_lshrrev_b32_e32 v11, s69, v11
	v_mul_lo_u32 v12, v11, s68
	v_sub_u32_e32 v18, v11, v18
	v_sub_u32_e32 v12, v13, v12
	;; [unrolled: 1-line block ×3, first 2 shown]
	v_mul_lo_u32 v13, s33, v13
	v_sub_u32_e32 v8, v13, v8
	v_sub_u32_e32 v20, v12, v20
	v_add_u32_e32 v8, v6, v8
	v_mul_lo_u32 v13, v20, s55
	v_mul_lo_u32 v8, v8, s43
	v_add_u32_e32 v19, v20, v19
	v_add3_u32 v16, v13, v16, v8
	v_add_u32_e32 v6, 32, v6
	s_cbranch_scc0 .LBB5_102
; %bb.79:                               ;   in Loop: Header=BB5_72 Depth=1
	v_mov_b32_e32 v8, v10
	v_mov_b32_e32 v18, v11
	;; [unrolled: 1-line block ×3, first 2 shown]
	s_branch .LBB5_72
.LBB5_80:                               ;   in Loop: Header=BB5_72 Depth=1
	s_or_b64 exec, exec, s[0:1]
	s_and_saveexec_b64 s[0:1], vcc
	s_cbranch_execz .LBB5_76
.LBB5_81:                               ;   in Loop: Header=BB5_72 Depth=1
	buffer_load_dword v12, v21, s[8:11], 0 offen offset:8
	s_or_b64 exec, exec, s[0:1]
	v_mov_b32_e32 v13, 0
	s_and_saveexec_b64 s[0:1], vcc
	s_cbranch_execnz .LBB5_77
	s_branch .LBB5_78
.LBB5_82:
	s_andn2_saveexec_b64 s[36:37], s[62:63]
	s_cbranch_execz .LBB5_68
.LBB5_83:
	s_and_saveexec_b64 s[62:63], vcc
	s_cbranch_execz .LBB5_117
; %bb.84:
	v_and_b32_e32 v15, 0x810, v2
	v_lshl_add_u32 v15, v31, 4, v15
	v_lshl_or_b32 v15, v9, 2, v15
	v_mov_b32_e32 v17, 0
	ds_write_b32 v15, v17
	s_or_b64 exec, exec, s[62:63]
	s_and_saveexec_b64 s[62:63], s[0:1]
	s_cbranch_execnz .LBB5_118
.LBB5_85:
	s_or_b64 exec, exec, s[62:63]
	s_and_saveexec_b64 s[0:1], s[34:35]
	s_cbranch_execz .LBB5_119
.LBB5_86:
	v_and_b32_e32 v15, 0x810, v2
	v_lshl_add_u32 v15, v26, 4, v15
	v_lshl_or_b32 v15, v9, 2, v15
	v_mov_b32_e32 v17, 0
	ds_write_b32 v15, v17
	s_or_b64 exec, exec, s[0:1]
	s_and_saveexec_b64 s[0:1], s[30:31]
	s_cbranch_execnz .LBB5_120
.LBB5_87:
	s_or_b64 exec, exec, s[0:1]
	s_and_saveexec_b64 s[0:1], s[6:7]
	s_cbranch_execz .LBB5_121
.LBB5_88:
	v_and_b32_e32 v15, 0x810, v2
	v_lshl_add_u32 v15, v19, 4, v15
	v_lshl_or_b32 v15, v9, 2, v15
	v_mov_b32_e32 v17, 0
	ds_write_b32 v15, v17
	s_or_b64 exec, exec, s[0:1]
	s_and_saveexec_b64 s[0:1], s[8:9]
	s_cbranch_execnz .LBB5_122
.LBB5_89:
	s_or_b64 exec, exec, s[0:1]
	s_and_saveexec_b64 s[0:1], s[10:11]
	s_cbranch_execz .LBB5_123
.LBB5_90:
	v_and_b32_e32 v15, 0x810, v2
	v_lshl_add_u32 v14, v14, 4, v15
	v_lshl_or_b32 v14, v9, 2, v14
	v_mov_b32_e32 v15, 0
	ds_write_b32 v14, v15
	s_or_b64 exec, exec, s[0:1]
	s_and_saveexec_b64 s[0:1], s[12:13]
	s_cbranch_execnz .LBB5_124
.LBB5_91:
	s_or_b64 exec, exec, s[0:1]
	s_and_saveexec_b64 s[0:1], s[14:15]
	s_cbranch_execz .LBB5_125
.LBB5_92:
	v_and_b32_e32 v13, 0x810, v2
	v_lshl_add_u32 v12, v12, 4, v13
	v_lshl_or_b32 v12, v9, 2, v12
	v_mov_b32_e32 v13, 0
	ds_write_b32 v12, v13
	s_or_b64 exec, exec, s[0:1]
	s_and_saveexec_b64 s[0:1], s[16:17]
	s_cbranch_execnz .LBB5_126
.LBB5_93:
	s_or_b64 exec, exec, s[0:1]
	s_and_saveexec_b64 s[0:1], s[18:19]
	s_cbranch_execz .LBB5_127
.LBB5_94:
	v_and_b32_e32 v11, 0x810, v2
	v_lshl_add_u32 v10, v10, 4, v11
	v_lshl_or_b32 v10, v9, 2, v10
	v_mov_b32_e32 v11, 0
	ds_write_b32 v10, v11
	s_or_b64 exec, exec, s[0:1]
	s_and_saveexec_b64 s[0:1], s[20:21]
	s_cbranch_execnz .LBB5_128
.LBB5_95:
	s_or_b64 exec, exec, s[0:1]
	s_and_saveexec_b64 s[0:1], s[22:23]
	s_cbranch_execz .LBB5_129
.LBB5_96:
	v_and_b32_e32 v8, 0x810, v2
	v_lshl_add_u32 v6, v6, 4, v8
	v_lshl_or_b32 v6, v9, 2, v6
	v_mov_b32_e32 v8, 0
	ds_write_b32 v6, v8
	s_or_b64 exec, exec, s[0:1]
	s_and_saveexec_b64 s[0:1], s[24:25]
	s_cbranch_execnz .LBB5_130
.LBB5_97:
	s_or_b64 exec, exec, s[0:1]
	s_and_saveexec_b64 s[0:1], s[26:27]
.LBB5_98:
	v_and_b32_e32 v5, 0x810, v2
	v_lshl_add_u32 v4, v4, 4, v5
	v_lshl_or_b32 v4, v9, 2, v4
	v_mov_b32_e32 v5, 0
	ds_write_b32 v4, v5
.LBB5_99:
	s_or_b64 exec, exec, s[0:1]
	s_mov_b64 s[0:1], s[64:65]
                                        ; implicit-def: $vgpr38
	s_and_saveexec_b64 s[6:7], s[28:29]
; %bb.100:
	v_and_b32_e32 v2, 0x204, v2
	v_lshl_add_u32 v2, v3, 2, v2
	v_and_or_b32 v38, v1, 3, v2
	s_or_b64 s[0:1], s[64:65], exec
; %bb.101:
	s_or_b64 exec, exec, s[6:7]
	s_andn2_b64 s[6:7], s[64:65], exec
	s_and_b64 s[0:1], s[0:1], exec
	v_mov_b32_e32 v39, 0
	s_or_b64 s[64:65], s[6:7], s[0:1]
	s_or_b64 exec, exec, s[36:37]
	s_and_saveexec_b64 s[0:1], s[64:65]
	s_cbranch_execnz .LBB5_69
	s_branch .LBB5_70
.LBB5_102:
	v_readfirstlane_b32 s0, v0
	s_lshr_b32 s1, s0, 3
	s_and_b32 s1, s1, 0xffffff8
	v_and_b32_e32 v0, 28, v7
	v_add_lshl_u32 v6, s1, v14, 4
	s_movk_i32 s1, 0x84
	v_mad_u32_u24 v0, v0, s1, v6
	ds_write_b128 v0, v[2:5] offset:4112
	; sched_barrier mask(0x00000000)
	s_lshr_b32 s0, s0, 5
	s_and_b32 s0, s0, 0x7fffffe
	v_lshrrev_b32_e32 v0, 5, v1
	v_bfe_u32 v2, v1, 2, 3
	v_add_u32_e32 v0, s0, v0
	v_mul_u32_u24_e32 v2, 0x210, v2
	v_lshl_add_u32 v2, v0, 4, v2
	v_lshl_or_b32 v2, v9, 2, v2
	v_add_u32_e32 v4, 0x1000, v2
	s_waitcnt lgkmcnt(0)
	s_barrier
	ds_read2_b32 v[2:3], v4 offset0:68 offset1:100
	ds_read2_b32 v[4:5], v4 offset0:4 offset1:36
	s_mul_i32 s0, s44, s6
	s_add_i32 s6, s0, s41
	s_mul_hi_i32 s1, s47, s3
	s_mul_i32 s0, s47, s3
	s_lshl_b64 s[0:1], s[0:1], 1
	s_add_u32 s3, s52, s0
	s_waitcnt lgkmcnt(0)
	v_add_f32_e32 v4, 0, v4
	s_addc_u32 s7, s53, s1
	s_mul_hi_i32 s1, s5, s4
	s_mul_i32 s0, s5, s4
	v_add_f32_e32 v4, v5, v4
	s_lshl_b64 s[0:1], s[0:1], 1
	v_add_f32_e32 v2, v2, v4
	v_add_u32_e32 v0, s59, v0
	s_add_u32 s0, s3, s0
	v_add_f32_e32 v2, v3, v2
	v_and_or_b32 v1, v1, 31, s2
	v_mul_lo_u32 v0, v0, s44
	s_addc_u32 s1, s7, s1
	v_cvt_pk_bf16_f32 v2, v2, s0
	s_lshl_b32 s2, s6, 1
	s_mov_b32 s3, 0x20000
	v_add_lshl_u32 v0, v1, v0, 1
	buffer_store_short v2, v0, s[0:3], 0 offen
	s_endpgm
.LBB5_103:
	s_or_b64 exec, exec, s[64:65]
	s_and_saveexec_b64 s[64:65], s[0:1]
	s_cbranch_execz .LBB5_51
.LBB5_104:
	v_sub_f32_e32 v31, v35, v22
	s_mov_b32 s36, 0x3fb8aa3b
	v_mul_f32_e32 v35, 0x3fb8aa3b, v31
	v_fma_f32 v37, v31, s36, -v35
	v_rndne_f32_e32 v38, v35
	v_fmamk_f32 v37, v31, 0x32a5705f, v37
	v_sub_f32_e32 v35, v35, v38
	v_add_f32_e32 v35, v35, v37
	v_exp_f32_e32 v35, v35
	v_cvt_i32_f32_e32 v37, v38
	s_mov_b32 s36, 0xc2ce8ed0
	v_cmp_ngt_f32_e64 s[36:37], s36, v31
	v_ldexp_f32 v35, v35, v37
	s_nop 0
	v_cndmask_b32_e64 v35, 0, v35, s[36:37]
	s_mov_b32 s36, 0x42b17218
	v_mov_b32_e32 v37, 0x7f800000
	v_cmp_nlt_f32_e64 s[36:37], s36, v31
	s_nop 1
	v_cndmask_b32_e64 v31, v37, v35, s[36:37]
	v_and_b32_e32 v35, 0x810, v2
	v_lshl_add_u32 v28, v28, 4, v35
	v_lshl_or_b32 v28, v9, 2, v28
	ds_write_b32 v28, v31
	s_or_b64 exec, exec, s[64:65]
	s_and_saveexec_b64 s[64:65], s[34:35]
	s_cbranch_execnz .LBB5_52
.LBB5_105:
	s_or_b64 exec, exec, s[64:65]
	s_and_saveexec_b64 s[64:65], s[30:31]
	s_cbranch_execz .LBB5_53
.LBB5_106:
	v_sub_f32_e32 v26, v33, v22
	s_mov_b32 s36, 0x3fb8aa3b
	v_mul_f32_e32 v28, 0x3fb8aa3b, v26
	v_fma_f32 v31, v26, s36, -v28
	v_rndne_f32_e32 v33, v28
	v_fmamk_f32 v31, v26, 0x32a5705f, v31
	v_sub_f32_e32 v28, v28, v33
	v_add_f32_e32 v28, v28, v31
	v_exp_f32_e32 v28, v28
	v_cvt_i32_f32_e32 v31, v33
	s_mov_b32 s36, 0xc2ce8ed0
	v_cmp_ngt_f32_e64 s[36:37], s36, v26
	v_ldexp_f32 v28, v28, v31
	s_nop 0
	v_cndmask_b32_e64 v28, 0, v28, s[36:37]
	s_mov_b32 s36, 0x42b17218
	v_mov_b32_e32 v31, 0x7f800000
	v_cmp_nlt_f32_e64 s[36:37], s36, v26
	s_nop 1
	v_cndmask_b32_e64 v26, v31, v28, s[36:37]
	v_and_b32_e32 v28, 0x810, v2
	v_lshl_add_u32 v23, v23, 4, v28
	v_lshl_or_b32 v23, v9, 2, v23
	ds_write_b32 v23, v26
	s_or_b64 exec, exec, s[64:65]
	s_and_saveexec_b64 s[64:65], s[6:7]
	s_cbranch_execnz .LBB5_54
.LBB5_107:
	s_or_b64 exec, exec, s[64:65]
	s_and_saveexec_b64 s[64:65], s[8:9]
	s_cbranch_execz .LBB5_55
.LBB5_108:
	v_sub_f32_e32 v19, v30, v22
	s_mov_b32 s36, 0x3fb8aa3b
	v_mul_f32_e32 v23, 0x3fb8aa3b, v19
	v_fma_f32 v26, v19, s36, -v23
	v_rndne_f32_e32 v28, v23
	v_fmamk_f32 v26, v19, 0x32a5705f, v26
	v_sub_f32_e32 v23, v23, v28
	v_add_f32_e32 v23, v23, v26
	v_exp_f32_e32 v23, v23
	v_cvt_i32_f32_e32 v26, v28
	s_mov_b32 s36, 0xc2ce8ed0
	v_cmp_ngt_f32_e64 s[36:37], s36, v19
	v_ldexp_f32 v23, v23, v26
	s_nop 0
	v_cndmask_b32_e64 v23, 0, v23, s[36:37]
	s_mov_b32 s36, 0x42b17218
	v_mov_b32_e32 v26, 0x7f800000
	v_cmp_nlt_f32_e64 s[36:37], s36, v19
	s_nop 1
	v_cndmask_b32_e64 v19, v26, v23, s[36:37]
	v_and_b32_e32 v23, 0x810, v2
	v_lshl_add_u32 v16, v16, 4, v23
	v_lshl_or_b32 v16, v9, 2, v16
	ds_write_b32 v16, v19
	s_or_b64 exec, exec, s[64:65]
	s_and_saveexec_b64 s[64:65], s[10:11]
	s_cbranch_execnz .LBB5_56
.LBB5_109:
	s_or_b64 exec, exec, s[64:65]
	s_and_saveexec_b64 s[64:65], s[12:13]
	s_cbranch_execz .LBB5_57
.LBB5_110:
	v_sub_f32_e32 v14, v27, v22
	s_mov_b32 s36, 0x3fb8aa3b
	v_mul_f32_e32 v16, 0x3fb8aa3b, v14
	v_fma_f32 v19, v14, s36, -v16
	v_rndne_f32_e32 v23, v16
	v_fmamk_f32 v19, v14, 0x32a5705f, v19
	v_sub_f32_e32 v16, v16, v23
	v_add_f32_e32 v16, v16, v19
	v_exp_f32_e32 v16, v16
	v_cvt_i32_f32_e32 v19, v23
	s_mov_b32 s36, 0xc2ce8ed0
	v_cmp_ngt_f32_e64 s[36:37], s36, v14
	v_ldexp_f32 v16, v16, v19
	s_nop 0
	v_cndmask_b32_e64 v16, 0, v16, s[36:37]
	s_mov_b32 s36, 0x42b17218
	v_mov_b32_e32 v19, 0x7f800000
	v_cmp_nlt_f32_e64 s[36:37], s36, v14
	s_nop 1
	v_cndmask_b32_e64 v14, v19, v16, s[36:37]
	v_and_b32_e32 v16, 0x810, v2
	v_lshl_add_u32 v13, v13, 4, v16
	v_lshl_or_b32 v13, v9, 2, v13
	ds_write_b32 v13, v14
	s_or_b64 exec, exec, s[64:65]
	s_and_saveexec_b64 s[64:65], s[14:15]
	s_cbranch_execnz .LBB5_58
.LBB5_111:
	s_or_b64 exec, exec, s[64:65]
	s_and_saveexec_b64 s[64:65], s[16:17]
	s_cbranch_execz .LBB5_59
.LBB5_112:
	v_sub_f32_e32 v12, v24, v22
	s_mov_b32 s36, 0x3fb8aa3b
	v_mul_f32_e32 v13, 0x3fb8aa3b, v12
	v_fma_f32 v14, v12, s36, -v13
	v_rndne_f32_e32 v16, v13
	v_fmamk_f32 v14, v12, 0x32a5705f, v14
	v_sub_f32_e32 v13, v13, v16
	v_add_f32_e32 v13, v13, v14
	v_exp_f32_e32 v13, v13
	v_cvt_i32_f32_e32 v14, v16
	s_mov_b32 s36, 0xc2ce8ed0
	v_cmp_ngt_f32_e64 s[36:37], s36, v12
	v_ldexp_f32 v13, v13, v14
	s_nop 0
	v_cndmask_b32_e64 v13, 0, v13, s[36:37]
	s_mov_b32 s36, 0x42b17218
	v_mov_b32_e32 v14, 0x7f800000
	v_cmp_nlt_f32_e64 s[36:37], s36, v12
	s_nop 1
	v_cndmask_b32_e64 v12, v14, v13, s[36:37]
	v_and_b32_e32 v13, 0x810, v2
	v_lshl_add_u32 v11, v11, 4, v13
	v_lshl_or_b32 v11, v9, 2, v11
	ds_write_b32 v11, v12
	s_or_b64 exec, exec, s[64:65]
	s_and_saveexec_b64 s[64:65], s[18:19]
	s_cbranch_execnz .LBB5_60
.LBB5_113:
	s_or_b64 exec, exec, s[64:65]
	s_and_saveexec_b64 s[64:65], s[20:21]
	s_cbranch_execz .LBB5_61
.LBB5_114:
	v_sub_f32_e32 v10, v20, v22
	s_mov_b32 s36, 0x3fb8aa3b
	v_mul_f32_e32 v11, 0x3fb8aa3b, v10
	v_fma_f32 v12, v10, s36, -v11
	v_rndne_f32_e32 v13, v11
	v_fmamk_f32 v12, v10, 0x32a5705f, v12
	v_sub_f32_e32 v11, v11, v13
	v_add_f32_e32 v11, v11, v12
	v_exp_f32_e32 v11, v11
	v_cvt_i32_f32_e32 v12, v13
	s_mov_b32 s36, 0xc2ce8ed0
	v_cmp_ngt_f32_e64 s[36:37], s36, v10
	v_ldexp_f32 v11, v11, v12
	s_nop 0
	v_cndmask_b32_e64 v11, 0, v11, s[36:37]
	s_mov_b32 s36, 0x42b17218
	v_mov_b32_e32 v12, 0x7f800000
	v_cmp_nlt_f32_e64 s[36:37], s36, v10
	s_nop 1
	v_cndmask_b32_e64 v10, v12, v11, s[36:37]
	v_and_b32_e32 v11, 0x810, v2
	v_lshl_add_u32 v8, v8, 4, v11
	v_lshl_or_b32 v8, v9, 2, v8
	ds_write_b32 v8, v10
	s_or_b64 exec, exec, s[64:65]
	s_and_saveexec_b64 s[64:65], s[22:23]
	s_cbranch_execnz .LBB5_62
.LBB5_115:
	s_or_b64 exec, exec, s[64:65]
	s_and_saveexec_b64 s[64:65], s[24:25]
	s_cbranch_execz .LBB5_63
.LBB5_116:
	v_sub_f32_e32 v6, v17, v22
	s_mov_b32 s36, 0x3fb8aa3b
	v_mul_f32_e32 v8, 0x3fb8aa3b, v6
	v_fma_f32 v10, v6, s36, -v8
	v_rndne_f32_e32 v11, v8
	v_fmamk_f32 v10, v6, 0x32a5705f, v10
	v_sub_f32_e32 v8, v8, v11
	v_add_f32_e32 v8, v8, v10
	v_exp_f32_e32 v8, v8
	v_cvt_i32_f32_e32 v10, v11
	s_mov_b32 s36, 0xc2ce8ed0
	v_cmp_ngt_f32_e64 s[36:37], s36, v6
	v_ldexp_f32 v8, v8, v10
	s_nop 0
	v_cndmask_b32_e64 v8, 0, v8, s[36:37]
	s_mov_b32 s36, 0x42b17218
	v_mov_b32_e32 v10, 0x7f800000
	v_cmp_nlt_f32_e64 s[36:37], s36, v6
	s_nop 1
	v_cndmask_b32_e64 v6, v10, v8, s[36:37]
	v_and_b32_e32 v8, 0x810, v2
	v_lshl_add_u32 v5, v5, 4, v8
	v_lshl_or_b32 v5, v9, 2, v5
	ds_write_b32 v5, v6
	s_or_b64 exec, exec, s[64:65]
	s_and_saveexec_b64 s[64:65], s[26:27]
	s_cbranch_execnz .LBB5_64
	s_branch .LBB5_65
.LBB5_117:
	s_or_b64 exec, exec, s[62:63]
	s_and_saveexec_b64 s[62:63], s[0:1]
	s_cbranch_execz .LBB5_85
.LBB5_118:
	v_and_b32_e32 v15, 0x810, v2
	v_lshl_add_u32 v15, v28, 4, v15
	v_lshl_or_b32 v15, v9, 2, v15
	v_mov_b32_e32 v17, 0
	ds_write_b32 v15, v17
	s_or_b64 exec, exec, s[62:63]
	s_and_saveexec_b64 s[0:1], s[34:35]
	s_cbranch_execnz .LBB5_86
.LBB5_119:
	s_or_b64 exec, exec, s[0:1]
	s_and_saveexec_b64 s[0:1], s[30:31]
	s_cbranch_execz .LBB5_87
.LBB5_120:
	v_and_b32_e32 v15, 0x810, v2
	v_lshl_add_u32 v15, v23, 4, v15
	v_lshl_or_b32 v15, v9, 2, v15
	v_mov_b32_e32 v17, 0
	ds_write_b32 v15, v17
	s_or_b64 exec, exec, s[0:1]
	s_and_saveexec_b64 s[0:1], s[6:7]
	s_cbranch_execnz .LBB5_88
.LBB5_121:
	s_or_b64 exec, exec, s[0:1]
	s_and_saveexec_b64 s[0:1], s[8:9]
	s_cbranch_execz .LBB5_89
.LBB5_122:
	v_and_b32_e32 v15, 0x810, v2
	v_lshl_add_u32 v15, v16, 4, v15
	v_lshl_or_b32 v15, v9, 2, v15
	v_mov_b32_e32 v16, 0
	ds_write_b32 v15, v16
	s_or_b64 exec, exec, s[0:1]
	s_and_saveexec_b64 s[0:1], s[10:11]
	s_cbranch_execnz .LBB5_90
.LBB5_123:
	s_or_b64 exec, exec, s[0:1]
	s_and_saveexec_b64 s[0:1], s[12:13]
	s_cbranch_execz .LBB5_91
.LBB5_124:
	v_and_b32_e32 v14, 0x810, v2
	v_lshl_add_u32 v13, v13, 4, v14
	v_lshl_or_b32 v13, v9, 2, v13
	v_mov_b32_e32 v14, 0
	ds_write_b32 v13, v14
	s_or_b64 exec, exec, s[0:1]
	s_and_saveexec_b64 s[0:1], s[14:15]
	s_cbranch_execnz .LBB5_92
.LBB5_125:
	s_or_b64 exec, exec, s[0:1]
	s_and_saveexec_b64 s[0:1], s[16:17]
	s_cbranch_execz .LBB5_93
.LBB5_126:
	v_and_b32_e32 v12, 0x810, v2
	v_lshl_add_u32 v11, v11, 4, v12
	v_lshl_or_b32 v11, v9, 2, v11
	v_mov_b32_e32 v12, 0
	ds_write_b32 v11, v12
	s_or_b64 exec, exec, s[0:1]
	s_and_saveexec_b64 s[0:1], s[18:19]
	s_cbranch_execnz .LBB5_94
.LBB5_127:
	s_or_b64 exec, exec, s[0:1]
	s_and_saveexec_b64 s[0:1], s[20:21]
	s_cbranch_execz .LBB5_95
.LBB5_128:
	v_and_b32_e32 v10, 0x810, v2
	v_lshl_add_u32 v8, v8, 4, v10
	v_lshl_or_b32 v8, v9, 2, v8
	v_mov_b32_e32 v10, 0
	ds_write_b32 v8, v10
	s_or_b64 exec, exec, s[0:1]
	s_and_saveexec_b64 s[0:1], s[22:23]
	s_cbranch_execnz .LBB5_96
.LBB5_129:
	s_or_b64 exec, exec, s[0:1]
	s_and_saveexec_b64 s[0:1], s[24:25]
	s_cbranch_execz .LBB5_97
.LBB5_130:
	v_and_b32_e32 v6, 0x810, v2
	v_lshl_add_u32 v5, v5, 4, v6
	v_lshl_or_b32 v5, v9, 2, v5
	v_mov_b32_e32 v6, 0
	ds_write_b32 v5, v6
	s_or_b64 exec, exec, s[0:1]
	s_and_saveexec_b64 s[0:1], s[26:27]
	s_cbranch_execz .LBB5_99
	s_branch .LBB5_98
.LBB5_131:
                                        ; implicit-def: $sgpr58_sgpr59
	s_branch .LBB5_6
.LBB5_132:
                                        ; implicit-def: $sgpr60_sgpr61
	s_branch .LBB5_9
	.section	.rodata,"a",@progbits
	.p2align	6, 0x0
	.amdhsa_kernel _ZN7ck_tile6kentryINS_6gfx9_tELi1ENS_27FmhaFwdSplitKVCombineKernelINS_34BlockFmhaFwdSplitKVCombinePipelineINS_38BlockFmhaSplitKVCombinePipelineProblemIffDF16bLi256ELb0ELi32ENS_31TileFmhaFwdSplitKVCombineTraitsILb0ELb0ELb1ELb0ELi7ELin1EEEEENS_47BlockFmhaFwdSplitKVCombinePipelineDefaultPolicyEEENS_17Default2DEpilogueINS_24Default2DEpilogueProblemIfDF16bLb0ELb0ELb1EEEvEEEEJNSE_14BatchModeKargsEEEENSt9enable_ifIXnt26kattr_no_packed_fp32_ops_vIT_EEvE4typeEDpT2_
		.amdhsa_group_segment_fixed_size 8320
		.amdhsa_private_segment_fixed_size 0
		.amdhsa_kernarg_size 104
		.amdhsa_user_sgpr_count 2
		.amdhsa_user_sgpr_dispatch_ptr 0
		.amdhsa_user_sgpr_queue_ptr 0
		.amdhsa_user_sgpr_kernarg_segment_ptr 1
		.amdhsa_user_sgpr_dispatch_id 0
		.amdhsa_user_sgpr_kernarg_preload_length 0
		.amdhsa_user_sgpr_kernarg_preload_offset 0
		.amdhsa_user_sgpr_private_segment_size 0
		.amdhsa_uses_dynamic_stack 0
		.amdhsa_enable_private_segment 0
		.amdhsa_system_sgpr_workgroup_id_x 1
		.amdhsa_system_sgpr_workgroup_id_y 1
		.amdhsa_system_sgpr_workgroup_id_z 1
		.amdhsa_system_sgpr_workgroup_info 0
		.amdhsa_system_vgpr_workitem_id 0
		.amdhsa_next_free_vgpr 62
		.amdhsa_next_free_sgpr 75
		.amdhsa_accum_offset 64
		.amdhsa_reserve_vcc 1
		.amdhsa_float_round_mode_32 0
		.amdhsa_float_round_mode_16_64 0
		.amdhsa_float_denorm_mode_32 0
		.amdhsa_float_denorm_mode_16_64 3
		.amdhsa_dx10_clamp 1
		.amdhsa_ieee_mode 1
		.amdhsa_fp16_overflow 0
		.amdhsa_tg_split 0
		.amdhsa_exception_fp_ieee_invalid_op 0
		.amdhsa_exception_fp_denorm_src 0
		.amdhsa_exception_fp_ieee_div_zero 0
		.amdhsa_exception_fp_ieee_overflow 0
		.amdhsa_exception_fp_ieee_underflow 0
		.amdhsa_exception_fp_ieee_inexact 0
		.amdhsa_exception_int_div_zero 0
	.end_amdhsa_kernel
	.section	.text._ZN7ck_tile6kentryINS_6gfx9_tELi1ENS_27FmhaFwdSplitKVCombineKernelINS_34BlockFmhaFwdSplitKVCombinePipelineINS_38BlockFmhaSplitKVCombinePipelineProblemIffDF16bLi256ELb0ELi32ENS_31TileFmhaFwdSplitKVCombineTraitsILb0ELb0ELb1ELb0ELi7ELin1EEEEENS_47BlockFmhaFwdSplitKVCombinePipelineDefaultPolicyEEENS_17Default2DEpilogueINS_24Default2DEpilogueProblemIfDF16bLb0ELb0ELb1EEEvEEEEJNSE_14BatchModeKargsEEEENSt9enable_ifIXnt26kattr_no_packed_fp32_ops_vIT_EEvE4typeEDpT2_,"axG",@progbits,_ZN7ck_tile6kentryINS_6gfx9_tELi1ENS_27FmhaFwdSplitKVCombineKernelINS_34BlockFmhaFwdSplitKVCombinePipelineINS_38BlockFmhaSplitKVCombinePipelineProblemIffDF16bLi256ELb0ELi32ENS_31TileFmhaFwdSplitKVCombineTraitsILb0ELb0ELb1ELb0ELi7ELin1EEEEENS_47BlockFmhaFwdSplitKVCombinePipelineDefaultPolicyEEENS_17Default2DEpilogueINS_24Default2DEpilogueProblemIfDF16bLb0ELb0ELb1EEEvEEEEJNSE_14BatchModeKargsEEEENSt9enable_ifIXnt26kattr_no_packed_fp32_ops_vIT_EEvE4typeEDpT2_,comdat
.Lfunc_end5:
	.size	_ZN7ck_tile6kentryINS_6gfx9_tELi1ENS_27FmhaFwdSplitKVCombineKernelINS_34BlockFmhaFwdSplitKVCombinePipelineINS_38BlockFmhaSplitKVCombinePipelineProblemIffDF16bLi256ELb0ELi32ENS_31TileFmhaFwdSplitKVCombineTraitsILb0ELb0ELb1ELb0ELi7ELin1EEEEENS_47BlockFmhaFwdSplitKVCombinePipelineDefaultPolicyEEENS_17Default2DEpilogueINS_24Default2DEpilogueProblemIfDF16bLb0ELb0ELb1EEEvEEEEJNSE_14BatchModeKargsEEEENSt9enable_ifIXnt26kattr_no_packed_fp32_ops_vIT_EEvE4typeEDpT2_, .Lfunc_end5-_ZN7ck_tile6kentryINS_6gfx9_tELi1ENS_27FmhaFwdSplitKVCombineKernelINS_34BlockFmhaFwdSplitKVCombinePipelineINS_38BlockFmhaSplitKVCombinePipelineProblemIffDF16bLi256ELb0ELi32ENS_31TileFmhaFwdSplitKVCombineTraitsILb0ELb0ELb1ELb0ELi7ELin1EEEEENS_47BlockFmhaFwdSplitKVCombinePipelineDefaultPolicyEEENS_17Default2DEpilogueINS_24Default2DEpilogueProblemIfDF16bLb0ELb0ELb1EEEvEEEEJNSE_14BatchModeKargsEEEENSt9enable_ifIXnt26kattr_no_packed_fp32_ops_vIT_EEvE4typeEDpT2_
                                        ; -- End function
	.set _ZN7ck_tile6kentryINS_6gfx9_tELi1ENS_27FmhaFwdSplitKVCombineKernelINS_34BlockFmhaFwdSplitKVCombinePipelineINS_38BlockFmhaSplitKVCombinePipelineProblemIffDF16bLi256ELb0ELi32ENS_31TileFmhaFwdSplitKVCombineTraitsILb0ELb0ELb1ELb0ELi7ELin1EEEEENS_47BlockFmhaFwdSplitKVCombinePipelineDefaultPolicyEEENS_17Default2DEpilogueINS_24Default2DEpilogueProblemIfDF16bLb0ELb0ELb1EEEvEEEEJNSE_14BatchModeKargsEEEENSt9enable_ifIXnt26kattr_no_packed_fp32_ops_vIT_EEvE4typeEDpT2_.num_vgpr, 62
	.set _ZN7ck_tile6kentryINS_6gfx9_tELi1ENS_27FmhaFwdSplitKVCombineKernelINS_34BlockFmhaFwdSplitKVCombinePipelineINS_38BlockFmhaSplitKVCombinePipelineProblemIffDF16bLi256ELb0ELi32ENS_31TileFmhaFwdSplitKVCombineTraitsILb0ELb0ELb1ELb0ELi7ELin1EEEEENS_47BlockFmhaFwdSplitKVCombinePipelineDefaultPolicyEEENS_17Default2DEpilogueINS_24Default2DEpilogueProblemIfDF16bLb0ELb0ELb1EEEvEEEEJNSE_14BatchModeKargsEEEENSt9enable_ifIXnt26kattr_no_packed_fp32_ops_vIT_EEvE4typeEDpT2_.num_agpr, 0
	.set _ZN7ck_tile6kentryINS_6gfx9_tELi1ENS_27FmhaFwdSplitKVCombineKernelINS_34BlockFmhaFwdSplitKVCombinePipelineINS_38BlockFmhaSplitKVCombinePipelineProblemIffDF16bLi256ELb0ELi32ENS_31TileFmhaFwdSplitKVCombineTraitsILb0ELb0ELb1ELb0ELi7ELin1EEEEENS_47BlockFmhaFwdSplitKVCombinePipelineDefaultPolicyEEENS_17Default2DEpilogueINS_24Default2DEpilogueProblemIfDF16bLb0ELb0ELb1EEEvEEEEJNSE_14BatchModeKargsEEEENSt9enable_ifIXnt26kattr_no_packed_fp32_ops_vIT_EEvE4typeEDpT2_.numbered_sgpr, 75
	.set _ZN7ck_tile6kentryINS_6gfx9_tELi1ENS_27FmhaFwdSplitKVCombineKernelINS_34BlockFmhaFwdSplitKVCombinePipelineINS_38BlockFmhaSplitKVCombinePipelineProblemIffDF16bLi256ELb0ELi32ENS_31TileFmhaFwdSplitKVCombineTraitsILb0ELb0ELb1ELb0ELi7ELin1EEEEENS_47BlockFmhaFwdSplitKVCombinePipelineDefaultPolicyEEENS_17Default2DEpilogueINS_24Default2DEpilogueProblemIfDF16bLb0ELb0ELb1EEEvEEEEJNSE_14BatchModeKargsEEEENSt9enable_ifIXnt26kattr_no_packed_fp32_ops_vIT_EEvE4typeEDpT2_.num_named_barrier, 0
	.set _ZN7ck_tile6kentryINS_6gfx9_tELi1ENS_27FmhaFwdSplitKVCombineKernelINS_34BlockFmhaFwdSplitKVCombinePipelineINS_38BlockFmhaSplitKVCombinePipelineProblemIffDF16bLi256ELb0ELi32ENS_31TileFmhaFwdSplitKVCombineTraitsILb0ELb0ELb1ELb0ELi7ELin1EEEEENS_47BlockFmhaFwdSplitKVCombinePipelineDefaultPolicyEEENS_17Default2DEpilogueINS_24Default2DEpilogueProblemIfDF16bLb0ELb0ELb1EEEvEEEEJNSE_14BatchModeKargsEEEENSt9enable_ifIXnt26kattr_no_packed_fp32_ops_vIT_EEvE4typeEDpT2_.private_seg_size, 0
	.set _ZN7ck_tile6kentryINS_6gfx9_tELi1ENS_27FmhaFwdSplitKVCombineKernelINS_34BlockFmhaFwdSplitKVCombinePipelineINS_38BlockFmhaSplitKVCombinePipelineProblemIffDF16bLi256ELb0ELi32ENS_31TileFmhaFwdSplitKVCombineTraitsILb0ELb0ELb1ELb0ELi7ELin1EEEEENS_47BlockFmhaFwdSplitKVCombinePipelineDefaultPolicyEEENS_17Default2DEpilogueINS_24Default2DEpilogueProblemIfDF16bLb0ELb0ELb1EEEvEEEEJNSE_14BatchModeKargsEEEENSt9enable_ifIXnt26kattr_no_packed_fp32_ops_vIT_EEvE4typeEDpT2_.uses_vcc, 1
	.set _ZN7ck_tile6kentryINS_6gfx9_tELi1ENS_27FmhaFwdSplitKVCombineKernelINS_34BlockFmhaFwdSplitKVCombinePipelineINS_38BlockFmhaSplitKVCombinePipelineProblemIffDF16bLi256ELb0ELi32ENS_31TileFmhaFwdSplitKVCombineTraitsILb0ELb0ELb1ELb0ELi7ELin1EEEEENS_47BlockFmhaFwdSplitKVCombinePipelineDefaultPolicyEEENS_17Default2DEpilogueINS_24Default2DEpilogueProblemIfDF16bLb0ELb0ELb1EEEvEEEEJNSE_14BatchModeKargsEEEENSt9enable_ifIXnt26kattr_no_packed_fp32_ops_vIT_EEvE4typeEDpT2_.uses_flat_scratch, 0
	.set _ZN7ck_tile6kentryINS_6gfx9_tELi1ENS_27FmhaFwdSplitKVCombineKernelINS_34BlockFmhaFwdSplitKVCombinePipelineINS_38BlockFmhaSplitKVCombinePipelineProblemIffDF16bLi256ELb0ELi32ENS_31TileFmhaFwdSplitKVCombineTraitsILb0ELb0ELb1ELb0ELi7ELin1EEEEENS_47BlockFmhaFwdSplitKVCombinePipelineDefaultPolicyEEENS_17Default2DEpilogueINS_24Default2DEpilogueProblemIfDF16bLb0ELb0ELb1EEEvEEEEJNSE_14BatchModeKargsEEEENSt9enable_ifIXnt26kattr_no_packed_fp32_ops_vIT_EEvE4typeEDpT2_.has_dyn_sized_stack, 0
	.set _ZN7ck_tile6kentryINS_6gfx9_tELi1ENS_27FmhaFwdSplitKVCombineKernelINS_34BlockFmhaFwdSplitKVCombinePipelineINS_38BlockFmhaSplitKVCombinePipelineProblemIffDF16bLi256ELb0ELi32ENS_31TileFmhaFwdSplitKVCombineTraitsILb0ELb0ELb1ELb0ELi7ELin1EEEEENS_47BlockFmhaFwdSplitKVCombinePipelineDefaultPolicyEEENS_17Default2DEpilogueINS_24Default2DEpilogueProblemIfDF16bLb0ELb0ELb1EEEvEEEEJNSE_14BatchModeKargsEEEENSt9enable_ifIXnt26kattr_no_packed_fp32_ops_vIT_EEvE4typeEDpT2_.has_recursion, 0
	.set _ZN7ck_tile6kentryINS_6gfx9_tELi1ENS_27FmhaFwdSplitKVCombineKernelINS_34BlockFmhaFwdSplitKVCombinePipelineINS_38BlockFmhaSplitKVCombinePipelineProblemIffDF16bLi256ELb0ELi32ENS_31TileFmhaFwdSplitKVCombineTraitsILb0ELb0ELb1ELb0ELi7ELin1EEEEENS_47BlockFmhaFwdSplitKVCombinePipelineDefaultPolicyEEENS_17Default2DEpilogueINS_24Default2DEpilogueProblemIfDF16bLb0ELb0ELb1EEEvEEEEJNSE_14BatchModeKargsEEEENSt9enable_ifIXnt26kattr_no_packed_fp32_ops_vIT_EEvE4typeEDpT2_.has_indirect_call, 0
	.section	.AMDGPU.csdata,"",@progbits
; Kernel info:
; codeLenInByte = 9476
; TotalNumSgprs: 81
; NumVgprs: 62
; NumAgprs: 0
; TotalNumVgprs: 62
; ScratchSize: 0
; MemoryBound: 0
; FloatMode: 192
; IeeeMode: 1
; LDSByteSize: 8320 bytes/workgroup (compile time only)
; SGPRBlocks: 10
; VGPRBlocks: 7
; NumSGPRsForWavesPerEU: 81
; NumVGPRsForWavesPerEU: 62
; AccumOffset: 64
; Occupancy: 8
; WaveLimiterHint : 0
; COMPUTE_PGM_RSRC2:SCRATCH_EN: 0
; COMPUTE_PGM_RSRC2:USER_SGPR: 2
; COMPUTE_PGM_RSRC2:TRAP_HANDLER: 0
; COMPUTE_PGM_RSRC2:TGID_X_EN: 1
; COMPUTE_PGM_RSRC2:TGID_Y_EN: 1
; COMPUTE_PGM_RSRC2:TGID_Z_EN: 1
; COMPUTE_PGM_RSRC2:TIDIG_COMP_CNT: 0
; COMPUTE_PGM_RSRC3_GFX90A:ACCUM_OFFSET: 15
; COMPUTE_PGM_RSRC3_GFX90A:TG_SPLIT: 0
	.section	.AMDGPU.gpr_maximums,"",@progbits
	.set amdgpu.max_num_vgpr, 0
	.set amdgpu.max_num_agpr, 0
	.set amdgpu.max_num_sgpr, 0
	.section	.AMDGPU.csdata,"",@progbits
	.protected	_ZN7ck_tile34BlockFmhaFwdSplitKVCombinePipelineINS_38BlockFmhaSplitKVCombinePipelineProblemIffDF16bLi256ELb0ELi32ENS_31TileFmhaFwdSplitKVCombineTraitsILb0ELb0ELb1ELb0ELi3ELin1EEEEENS_47BlockFmhaFwdSplitKVCombinePipelineDefaultPolicyEE3kM0E ; @_ZN7ck_tile34BlockFmhaFwdSplitKVCombinePipelineINS_38BlockFmhaSplitKVCombinePipelineProblemIffDF16bLi256ELb0ELi32ENS_31TileFmhaFwdSplitKVCombineTraitsILb0ELb0ELb1ELb0ELi3ELin1EEEEENS_47BlockFmhaFwdSplitKVCombinePipelineDefaultPolicyEE3kM0E
	.type	_ZN7ck_tile34BlockFmhaFwdSplitKVCombinePipelineINS_38BlockFmhaSplitKVCombinePipelineProblemIffDF16bLi256ELb0ELi32ENS_31TileFmhaFwdSplitKVCombineTraitsILb0ELb0ELb1ELb0ELi3ELin1EEEEENS_47BlockFmhaFwdSplitKVCombinePipelineDefaultPolicyEE3kM0E,@object
	.section	.rodata._ZN7ck_tile34BlockFmhaFwdSplitKVCombinePipelineINS_38BlockFmhaSplitKVCombinePipelineProblemIffDF16bLi256ELb0ELi32ENS_31TileFmhaFwdSplitKVCombineTraitsILb0ELb0ELb1ELb0ELi3ELin1EEEEENS_47BlockFmhaFwdSplitKVCombinePipelineDefaultPolicyEE3kM0E,"aG",@progbits,_ZN7ck_tile34BlockFmhaFwdSplitKVCombinePipelineINS_38BlockFmhaSplitKVCombinePipelineProblemIffDF16bLi256ELb0ELi32ENS_31TileFmhaFwdSplitKVCombineTraitsILb0ELb0ELb1ELb0ELi3ELin1EEEEENS_47BlockFmhaFwdSplitKVCombinePipelineDefaultPolicyEE3kM0E,comdat
	.weak	_ZN7ck_tile34BlockFmhaFwdSplitKVCombinePipelineINS_38BlockFmhaSplitKVCombinePipelineProblemIffDF16bLi256ELb0ELi32ENS_31TileFmhaFwdSplitKVCombineTraitsILb0ELb0ELb1ELb0ELi3ELin1EEEEENS_47BlockFmhaFwdSplitKVCombinePipelineDefaultPolicyEE3kM0E
	.p2align	2, 0x0
_ZN7ck_tile34BlockFmhaFwdSplitKVCombinePipelineINS_38BlockFmhaSplitKVCombinePipelineProblemIffDF16bLi256ELb0ELi32ENS_31TileFmhaFwdSplitKVCombineTraitsILb0ELb0ELb1ELb0ELi3ELin1EEEEENS_47BlockFmhaFwdSplitKVCombinePipelineDefaultPolicyEE3kM0E:
	.long	8                               ; 0x8
	.size	_ZN7ck_tile34BlockFmhaFwdSplitKVCombinePipelineINS_38BlockFmhaSplitKVCombinePipelineProblemIffDF16bLi256ELb0ELi32ENS_31TileFmhaFwdSplitKVCombineTraitsILb0ELb0ELb1ELb0ELi3ELin1EEEEENS_47BlockFmhaFwdSplitKVCombinePipelineDefaultPolicyEE3kM0E, 4

	.protected	_ZN7ck_tile34BlockFmhaFwdSplitKVCombinePipelineINS_38BlockFmhaSplitKVCombinePipelineProblemIffDF16bLi256ELb0ELi32ENS_31TileFmhaFwdSplitKVCombineTraitsILb0ELb0ELb1ELb0ELi4ELin1EEEEENS_47BlockFmhaFwdSplitKVCombinePipelineDefaultPolicyEE3kM0E ; @_ZN7ck_tile34BlockFmhaFwdSplitKVCombinePipelineINS_38BlockFmhaSplitKVCombinePipelineProblemIffDF16bLi256ELb0ELi32ENS_31TileFmhaFwdSplitKVCombineTraitsILb0ELb0ELb1ELb0ELi4ELin1EEEEENS_47BlockFmhaFwdSplitKVCombinePipelineDefaultPolicyEE3kM0E
	.type	_ZN7ck_tile34BlockFmhaFwdSplitKVCombinePipelineINS_38BlockFmhaSplitKVCombinePipelineProblemIffDF16bLi256ELb0ELi32ENS_31TileFmhaFwdSplitKVCombineTraitsILb0ELb0ELb1ELb0ELi4ELin1EEEEENS_47BlockFmhaFwdSplitKVCombinePipelineDefaultPolicyEE3kM0E,@object
	.section	.rodata._ZN7ck_tile34BlockFmhaFwdSplitKVCombinePipelineINS_38BlockFmhaSplitKVCombinePipelineProblemIffDF16bLi256ELb0ELi32ENS_31TileFmhaFwdSplitKVCombineTraitsILb0ELb0ELb1ELb0ELi4ELin1EEEEENS_47BlockFmhaFwdSplitKVCombinePipelineDefaultPolicyEE3kM0E,"aG",@progbits,_ZN7ck_tile34BlockFmhaFwdSplitKVCombinePipelineINS_38BlockFmhaSplitKVCombinePipelineProblemIffDF16bLi256ELb0ELi32ENS_31TileFmhaFwdSplitKVCombineTraitsILb0ELb0ELb1ELb0ELi4ELin1EEEEENS_47BlockFmhaFwdSplitKVCombinePipelineDefaultPolicyEE3kM0E,comdat
	.weak	_ZN7ck_tile34BlockFmhaFwdSplitKVCombinePipelineINS_38BlockFmhaSplitKVCombinePipelineProblemIffDF16bLi256ELb0ELi32ENS_31TileFmhaFwdSplitKVCombineTraitsILb0ELb0ELb1ELb0ELi4ELin1EEEEENS_47BlockFmhaFwdSplitKVCombinePipelineDefaultPolicyEE3kM0E
	.p2align	2, 0x0
_ZN7ck_tile34BlockFmhaFwdSplitKVCombinePipelineINS_38BlockFmhaSplitKVCombinePipelineProblemIffDF16bLi256ELb0ELi32ENS_31TileFmhaFwdSplitKVCombineTraitsILb0ELb0ELb1ELb0ELi4ELin1EEEEENS_47BlockFmhaFwdSplitKVCombinePipelineDefaultPolicyEE3kM0E:
	.long	8                               ; 0x8
	.size	_ZN7ck_tile34BlockFmhaFwdSplitKVCombinePipelineINS_38BlockFmhaSplitKVCombinePipelineProblemIffDF16bLi256ELb0ELi32ENS_31TileFmhaFwdSplitKVCombineTraitsILb0ELb0ELb1ELb0ELi4ELin1EEEEENS_47BlockFmhaFwdSplitKVCombinePipelineDefaultPolicyEE3kM0E, 4

	.protected	_ZN7ck_tile34BlockFmhaFwdSplitKVCombinePipelineINS_38BlockFmhaSplitKVCombinePipelineProblemIffDF16bLi256ELb0ELi32ENS_31TileFmhaFwdSplitKVCombineTraitsILb0ELb0ELb1ELb0ELi5ELin1EEEEENS_47BlockFmhaFwdSplitKVCombinePipelineDefaultPolicyEE3kM0E ; @_ZN7ck_tile34BlockFmhaFwdSplitKVCombinePipelineINS_38BlockFmhaSplitKVCombinePipelineProblemIffDF16bLi256ELb0ELi32ENS_31TileFmhaFwdSplitKVCombineTraitsILb0ELb0ELb1ELb0ELi5ELin1EEEEENS_47BlockFmhaFwdSplitKVCombinePipelineDefaultPolicyEE3kM0E
	.type	_ZN7ck_tile34BlockFmhaFwdSplitKVCombinePipelineINS_38BlockFmhaSplitKVCombinePipelineProblemIffDF16bLi256ELb0ELi32ENS_31TileFmhaFwdSplitKVCombineTraitsILb0ELb0ELb1ELb0ELi5ELin1EEEEENS_47BlockFmhaFwdSplitKVCombinePipelineDefaultPolicyEE3kM0E,@object
	.section	.rodata._ZN7ck_tile34BlockFmhaFwdSplitKVCombinePipelineINS_38BlockFmhaSplitKVCombinePipelineProblemIffDF16bLi256ELb0ELi32ENS_31TileFmhaFwdSplitKVCombineTraitsILb0ELb0ELb1ELb0ELi5ELin1EEEEENS_47BlockFmhaFwdSplitKVCombinePipelineDefaultPolicyEE3kM0E,"aG",@progbits,_ZN7ck_tile34BlockFmhaFwdSplitKVCombinePipelineINS_38BlockFmhaSplitKVCombinePipelineProblemIffDF16bLi256ELb0ELi32ENS_31TileFmhaFwdSplitKVCombineTraitsILb0ELb0ELb1ELb0ELi5ELin1EEEEENS_47BlockFmhaFwdSplitKVCombinePipelineDefaultPolicyEE3kM0E,comdat
	.weak	_ZN7ck_tile34BlockFmhaFwdSplitKVCombinePipelineINS_38BlockFmhaSplitKVCombinePipelineProblemIffDF16bLi256ELb0ELi32ENS_31TileFmhaFwdSplitKVCombineTraitsILb0ELb0ELb1ELb0ELi5ELin1EEEEENS_47BlockFmhaFwdSplitKVCombinePipelineDefaultPolicyEE3kM0E
	.p2align	2, 0x0
_ZN7ck_tile34BlockFmhaFwdSplitKVCombinePipelineINS_38BlockFmhaSplitKVCombinePipelineProblemIffDF16bLi256ELb0ELi32ENS_31TileFmhaFwdSplitKVCombineTraitsILb0ELb0ELb1ELb0ELi5ELin1EEEEENS_47BlockFmhaFwdSplitKVCombinePipelineDefaultPolicyEE3kM0E:
	.long	8                               ; 0x8
	.size	_ZN7ck_tile34BlockFmhaFwdSplitKVCombinePipelineINS_38BlockFmhaSplitKVCombinePipelineProblemIffDF16bLi256ELb0ELi32ENS_31TileFmhaFwdSplitKVCombineTraitsILb0ELb0ELb1ELb0ELi5ELin1EEEEENS_47BlockFmhaFwdSplitKVCombinePipelineDefaultPolicyEE3kM0E, 4

	.protected	_ZN7ck_tile34BlockFmhaFwdSplitKVCombinePipelineINS_38BlockFmhaSplitKVCombinePipelineProblemIffDF16bLi256ELb0ELi32ENS_31TileFmhaFwdSplitKVCombineTraitsILb0ELb0ELb1ELb0ELi6ELin1EEEEENS_47BlockFmhaFwdSplitKVCombinePipelineDefaultPolicyEE3kM0E ; @_ZN7ck_tile34BlockFmhaFwdSplitKVCombinePipelineINS_38BlockFmhaSplitKVCombinePipelineProblemIffDF16bLi256ELb0ELi32ENS_31TileFmhaFwdSplitKVCombineTraitsILb0ELb0ELb1ELb0ELi6ELin1EEEEENS_47BlockFmhaFwdSplitKVCombinePipelineDefaultPolicyEE3kM0E
	.type	_ZN7ck_tile34BlockFmhaFwdSplitKVCombinePipelineINS_38BlockFmhaSplitKVCombinePipelineProblemIffDF16bLi256ELb0ELi32ENS_31TileFmhaFwdSplitKVCombineTraitsILb0ELb0ELb1ELb0ELi6ELin1EEEEENS_47BlockFmhaFwdSplitKVCombinePipelineDefaultPolicyEE3kM0E,@object
	.section	.rodata._ZN7ck_tile34BlockFmhaFwdSplitKVCombinePipelineINS_38BlockFmhaSplitKVCombinePipelineProblemIffDF16bLi256ELb0ELi32ENS_31TileFmhaFwdSplitKVCombineTraitsILb0ELb0ELb1ELb0ELi6ELin1EEEEENS_47BlockFmhaFwdSplitKVCombinePipelineDefaultPolicyEE3kM0E,"aG",@progbits,_ZN7ck_tile34BlockFmhaFwdSplitKVCombinePipelineINS_38BlockFmhaSplitKVCombinePipelineProblemIffDF16bLi256ELb0ELi32ENS_31TileFmhaFwdSplitKVCombineTraitsILb0ELb0ELb1ELb0ELi6ELin1EEEEENS_47BlockFmhaFwdSplitKVCombinePipelineDefaultPolicyEE3kM0E,comdat
	.weak	_ZN7ck_tile34BlockFmhaFwdSplitKVCombinePipelineINS_38BlockFmhaSplitKVCombinePipelineProblemIffDF16bLi256ELb0ELi32ENS_31TileFmhaFwdSplitKVCombineTraitsILb0ELb0ELb1ELb0ELi6ELin1EEEEENS_47BlockFmhaFwdSplitKVCombinePipelineDefaultPolicyEE3kM0E
	.p2align	2, 0x0
_ZN7ck_tile34BlockFmhaFwdSplitKVCombinePipelineINS_38BlockFmhaSplitKVCombinePipelineProblemIffDF16bLi256ELb0ELi32ENS_31TileFmhaFwdSplitKVCombineTraitsILb0ELb0ELb1ELb0ELi6ELin1EEEEENS_47BlockFmhaFwdSplitKVCombinePipelineDefaultPolicyEE3kM0E:
	.long	8                               ; 0x8
	.size	_ZN7ck_tile34BlockFmhaFwdSplitKVCombinePipelineINS_38BlockFmhaSplitKVCombinePipelineProblemIffDF16bLi256ELb0ELi32ENS_31TileFmhaFwdSplitKVCombineTraitsILb0ELb0ELb1ELb0ELi6ELin1EEEEENS_47BlockFmhaFwdSplitKVCombinePipelineDefaultPolicyEE3kM0E, 4

	.protected	_ZN7ck_tile34BlockFmhaFwdSplitKVCombinePipelineINS_38BlockFmhaSplitKVCombinePipelineProblemIffDF16bLi256ELb0ELi32ENS_31TileFmhaFwdSplitKVCombineTraitsILb0ELb0ELb1ELb0ELi7ELin1EEEEENS_47BlockFmhaFwdSplitKVCombinePipelineDefaultPolicyEE3kM0E ; @_ZN7ck_tile34BlockFmhaFwdSplitKVCombinePipelineINS_38BlockFmhaSplitKVCombinePipelineProblemIffDF16bLi256ELb0ELi32ENS_31TileFmhaFwdSplitKVCombineTraitsILb0ELb0ELb1ELb0ELi7ELin1EEEEENS_47BlockFmhaFwdSplitKVCombinePipelineDefaultPolicyEE3kM0E
	.type	_ZN7ck_tile34BlockFmhaFwdSplitKVCombinePipelineINS_38BlockFmhaSplitKVCombinePipelineProblemIffDF16bLi256ELb0ELi32ENS_31TileFmhaFwdSplitKVCombineTraitsILb0ELb0ELb1ELb0ELi7ELin1EEEEENS_47BlockFmhaFwdSplitKVCombinePipelineDefaultPolicyEE3kM0E,@object
	.section	.rodata._ZN7ck_tile34BlockFmhaFwdSplitKVCombinePipelineINS_38BlockFmhaSplitKVCombinePipelineProblemIffDF16bLi256ELb0ELi32ENS_31TileFmhaFwdSplitKVCombineTraitsILb0ELb0ELb1ELb0ELi7ELin1EEEEENS_47BlockFmhaFwdSplitKVCombinePipelineDefaultPolicyEE3kM0E,"aG",@progbits,_ZN7ck_tile34BlockFmhaFwdSplitKVCombinePipelineINS_38BlockFmhaSplitKVCombinePipelineProblemIffDF16bLi256ELb0ELi32ENS_31TileFmhaFwdSplitKVCombineTraitsILb0ELb0ELb1ELb0ELi7ELin1EEEEENS_47BlockFmhaFwdSplitKVCombinePipelineDefaultPolicyEE3kM0E,comdat
	.weak	_ZN7ck_tile34BlockFmhaFwdSplitKVCombinePipelineINS_38BlockFmhaSplitKVCombinePipelineProblemIffDF16bLi256ELb0ELi32ENS_31TileFmhaFwdSplitKVCombineTraitsILb0ELb0ELb1ELb0ELi7ELin1EEEEENS_47BlockFmhaFwdSplitKVCombinePipelineDefaultPolicyEE3kM0E
	.p2align	2, 0x0
_ZN7ck_tile34BlockFmhaFwdSplitKVCombinePipelineINS_38BlockFmhaSplitKVCombinePipelineProblemIffDF16bLi256ELb0ELi32ENS_31TileFmhaFwdSplitKVCombineTraitsILb0ELb0ELb1ELb0ELi7ELin1EEEEENS_47BlockFmhaFwdSplitKVCombinePipelineDefaultPolicyEE3kM0E:
	.long	8                               ; 0x8
	.size	_ZN7ck_tile34BlockFmhaFwdSplitKVCombinePipelineINS_38BlockFmhaSplitKVCombinePipelineProblemIffDF16bLi256ELb0ELi32ENS_31TileFmhaFwdSplitKVCombineTraitsILb0ELb0ELb1ELb0ELi7ELin1EEEEENS_47BlockFmhaFwdSplitKVCombinePipelineDefaultPolicyEE3kM0E, 4

	.type	__hip_cuid_52ea6651473fd8a5,@object ; @__hip_cuid_52ea6651473fd8a5
	.section	.bss,"aw",@nobits
	.globl	__hip_cuid_52ea6651473fd8a5
__hip_cuid_52ea6651473fd8a5:
	.byte	0                               ; 0x0
	.size	__hip_cuid_52ea6651473fd8a5, 1

	.ident	"AMD clang version 22.0.0git (https://github.com/RadeonOpenCompute/llvm-project roc-7.2.4 26084 f58b06dce1f9c15707c5f808fd002e18c2accf7e)"
	.section	".note.GNU-stack","",@progbits
	.addrsig
	.addrsig_sym __hip_cuid_52ea6651473fd8a5
	.amdgpu_metadata
---
amdhsa.kernels:
  - .agpr_count:     0
    .args:           []
    .group_segment_fixed_size: 0
    .kernarg_segment_align: 4
    .kernarg_segment_size: 0
    .language:       OpenCL C
    .language_version:
      - 2
      - 0
    .max_flat_workgroup_size: 1024
    .name:           _ZN7ck_tileL11flush_cacheEv
    .private_segment_fixed_size: 0
    .sgpr_count:     6
    .sgpr_spill_count: 0
    .symbol:         _ZN7ck_tileL11flush_cacheEv.kd
    .uses_dynamic_stack: false
    .vgpr_count:     0
    .vgpr_spill_count: 0
    .wavefront_size: 64
  - .agpr_count:     0
    .args:
      - .offset:         0
        .size:           104
        .value_kind:     by_value
    .group_segment_fixed_size: 4492
    .kernarg_segment_align: 8
    .kernarg_segment_size: 104
    .language:       OpenCL C
    .language_version:
      - 2
      - 0
    .max_flat_workgroup_size: 256
    .name:           _ZN7ck_tile6kentryINS_6gfx9_tELi2ENS_27FmhaFwdSplitKVCombineKernelINS_34BlockFmhaFwdSplitKVCombinePipelineINS_38BlockFmhaSplitKVCombinePipelineProblemIffDF16bLi256ELb0ELi32ENS_31TileFmhaFwdSplitKVCombineTraitsILb0ELb0ELb1ELb0ELi3ELin1EEEEENS_47BlockFmhaFwdSplitKVCombinePipelineDefaultPolicyEEENS_17Default2DEpilogueINS_24Default2DEpilogueProblemIfDF16bLb0ELb0ELb1EEEvEEEEJNSE_14BatchModeKargsEEEENSt9enable_ifIXnt26kattr_no_packed_fp32_ops_vIT_EEvE4typeEDpT2_
    .private_segment_fixed_size: 0
    .sgpr_count:     58
    .sgpr_spill_count: 0
    .symbol:         _ZN7ck_tile6kentryINS_6gfx9_tELi2ENS_27FmhaFwdSplitKVCombineKernelINS_34BlockFmhaFwdSplitKVCombinePipelineINS_38BlockFmhaSplitKVCombinePipelineProblemIffDF16bLi256ELb0ELi32ENS_31TileFmhaFwdSplitKVCombineTraitsILb0ELb0ELb1ELb0ELi3ELin1EEEEENS_47BlockFmhaFwdSplitKVCombinePipelineDefaultPolicyEEENS_17Default2DEpilogueINS_24Default2DEpilogueProblemIfDF16bLb0ELb0ELb1EEEvEEEEJNSE_14BatchModeKargsEEEENSt9enable_ifIXnt26kattr_no_packed_fp32_ops_vIT_EEvE4typeEDpT2_.kd
    .uses_dynamic_stack: false
    .vgpr_count:     22
    .vgpr_spill_count: 0
    .wavefront_size: 64
  - .agpr_count:     0
    .args:
      - .offset:         0
        .size:           104
        .value_kind:     by_value
    .group_segment_fixed_size: 4748
    .kernarg_segment_align: 8
    .kernarg_segment_size: 104
    .language:       OpenCL C
    .language_version:
      - 2
      - 0
    .max_flat_workgroup_size: 256
    .name:           _ZN7ck_tile6kentryINS_6gfx9_tELi2ENS_27FmhaFwdSplitKVCombineKernelINS_34BlockFmhaFwdSplitKVCombinePipelineINS_38BlockFmhaSplitKVCombinePipelineProblemIffDF16bLi256ELb0ELi32ENS_31TileFmhaFwdSplitKVCombineTraitsILb0ELb0ELb1ELb0ELi4ELin1EEEEENS_47BlockFmhaFwdSplitKVCombinePipelineDefaultPolicyEEENS_17Default2DEpilogueINS_24Default2DEpilogueProblemIfDF16bLb0ELb0ELb1EEEvEEEEJNSE_14BatchModeKargsEEEENSt9enable_ifIXnt26kattr_no_packed_fp32_ops_vIT_EEvE4typeEDpT2_
    .private_segment_fixed_size: 0
    .sgpr_count:     58
    .sgpr_spill_count: 0
    .symbol:         _ZN7ck_tile6kentryINS_6gfx9_tELi2ENS_27FmhaFwdSplitKVCombineKernelINS_34BlockFmhaFwdSplitKVCombinePipelineINS_38BlockFmhaSplitKVCombinePipelineProblemIffDF16bLi256ELb0ELi32ENS_31TileFmhaFwdSplitKVCombineTraitsILb0ELb0ELb1ELb0ELi4ELin1EEEEENS_47BlockFmhaFwdSplitKVCombinePipelineDefaultPolicyEEENS_17Default2DEpilogueINS_24Default2DEpilogueProblemIfDF16bLb0ELb0ELb1EEEvEEEEJNSE_14BatchModeKargsEEEENSt9enable_ifIXnt26kattr_no_packed_fp32_ops_vIT_EEvE4typeEDpT2_.kd
    .uses_dynamic_stack: false
    .vgpr_count:     22
    .vgpr_spill_count: 0
    .wavefront_size: 64
  - .agpr_count:     0
    .args:
      - .offset:         0
        .size:           104
        .value_kind:     by_value
    .group_segment_fixed_size: 5260
    .kernarg_segment_align: 8
    .kernarg_segment_size: 104
    .language:       OpenCL C
    .language_version:
      - 2
      - 0
    .max_flat_workgroup_size: 256
    .name:           _ZN7ck_tile6kentryINS_6gfx9_tELi2ENS_27FmhaFwdSplitKVCombineKernelINS_34BlockFmhaFwdSplitKVCombinePipelineINS_38BlockFmhaSplitKVCombinePipelineProblemIffDF16bLi256ELb0ELi32ENS_31TileFmhaFwdSplitKVCombineTraitsILb0ELb0ELb1ELb0ELi5ELin1EEEEENS_47BlockFmhaFwdSplitKVCombinePipelineDefaultPolicyEEENS_17Default2DEpilogueINS_24Default2DEpilogueProblemIfDF16bLb0ELb0ELb1EEEvEEEEJNSE_14BatchModeKargsEEEENSt9enable_ifIXnt26kattr_no_packed_fp32_ops_vIT_EEvE4typeEDpT2_
    .private_segment_fixed_size: 0
    .sgpr_count:     57
    .sgpr_spill_count: 0
    .symbol:         _ZN7ck_tile6kentryINS_6gfx9_tELi2ENS_27FmhaFwdSplitKVCombineKernelINS_34BlockFmhaFwdSplitKVCombinePipelineINS_38BlockFmhaSplitKVCombinePipelineProblemIffDF16bLi256ELb0ELi32ENS_31TileFmhaFwdSplitKVCombineTraitsILb0ELb0ELb1ELb0ELi5ELin1EEEEENS_47BlockFmhaFwdSplitKVCombinePipelineDefaultPolicyEEENS_17Default2DEpilogueINS_24Default2DEpilogueProblemIfDF16bLb0ELb0ELb1EEEvEEEEJNSE_14BatchModeKargsEEEENSt9enable_ifIXnt26kattr_no_packed_fp32_ops_vIT_EEvE4typeEDpT2_.kd
    .uses_dynamic_stack: false
    .vgpr_count:     26
    .vgpr_spill_count: 0
    .wavefront_size: 64
  - .agpr_count:     0
    .args:
      - .offset:         0
        .size:           104
        .value_kind:     by_value
    .group_segment_fixed_size: 6280
    .kernarg_segment_align: 8
    .kernarg_segment_size: 104
    .language:       OpenCL C
    .language_version:
      - 2
      - 0
    .max_flat_workgroup_size: 256
    .name:           _ZN7ck_tile6kentryINS_6gfx9_tELi2ENS_27FmhaFwdSplitKVCombineKernelINS_34BlockFmhaFwdSplitKVCombinePipelineINS_38BlockFmhaSplitKVCombinePipelineProblemIffDF16bLi256ELb0ELi32ENS_31TileFmhaFwdSplitKVCombineTraitsILb0ELb0ELb1ELb0ELi6ELin1EEEEENS_47BlockFmhaFwdSplitKVCombinePipelineDefaultPolicyEEENS_17Default2DEpilogueINS_24Default2DEpilogueProblemIfDF16bLb0ELb0ELb1EEEvEEEEJNSE_14BatchModeKargsEEEENSt9enable_ifIXnt26kattr_no_packed_fp32_ops_vIT_EEvE4typeEDpT2_
    .private_segment_fixed_size: 0
    .sgpr_count:     65
    .sgpr_spill_count: 0
    .symbol:         _ZN7ck_tile6kentryINS_6gfx9_tELi2ENS_27FmhaFwdSplitKVCombineKernelINS_34BlockFmhaFwdSplitKVCombinePipelineINS_38BlockFmhaSplitKVCombinePipelineProblemIffDF16bLi256ELb0ELi32ENS_31TileFmhaFwdSplitKVCombineTraitsILb0ELb0ELb1ELb0ELi6ELin1EEEEENS_47BlockFmhaFwdSplitKVCombinePipelineDefaultPolicyEEENS_17Default2DEpilogueINS_24Default2DEpilogueProblemIfDF16bLb0ELb0ELb1EEEvEEEEJNSE_14BatchModeKargsEEEENSt9enable_ifIXnt26kattr_no_packed_fp32_ops_vIT_EEvE4typeEDpT2_.kd
    .uses_dynamic_stack: false
    .vgpr_count:     39
    .vgpr_spill_count: 0
    .wavefront_size: 64
  - .agpr_count:     0
    .args:
      - .offset:         0
        .size:           104
        .value_kind:     by_value
    .group_segment_fixed_size: 8320
    .kernarg_segment_align: 8
    .kernarg_segment_size: 104
    .language:       OpenCL C
    .language_version:
      - 2
      - 0
    .max_flat_workgroup_size: 256
    .name:           _ZN7ck_tile6kentryINS_6gfx9_tELi1ENS_27FmhaFwdSplitKVCombineKernelINS_34BlockFmhaFwdSplitKVCombinePipelineINS_38BlockFmhaSplitKVCombinePipelineProblemIffDF16bLi256ELb0ELi32ENS_31TileFmhaFwdSplitKVCombineTraitsILb0ELb0ELb1ELb0ELi7ELin1EEEEENS_47BlockFmhaFwdSplitKVCombinePipelineDefaultPolicyEEENS_17Default2DEpilogueINS_24Default2DEpilogueProblemIfDF16bLb0ELb0ELb1EEEvEEEEJNSE_14BatchModeKargsEEEENSt9enable_ifIXnt26kattr_no_packed_fp32_ops_vIT_EEvE4typeEDpT2_
    .private_segment_fixed_size: 0
    .sgpr_count:     81
    .sgpr_spill_count: 0
    .symbol:         _ZN7ck_tile6kentryINS_6gfx9_tELi1ENS_27FmhaFwdSplitKVCombineKernelINS_34BlockFmhaFwdSplitKVCombinePipelineINS_38BlockFmhaSplitKVCombinePipelineProblemIffDF16bLi256ELb0ELi32ENS_31TileFmhaFwdSplitKVCombineTraitsILb0ELb0ELb1ELb0ELi7ELin1EEEEENS_47BlockFmhaFwdSplitKVCombinePipelineDefaultPolicyEEENS_17Default2DEpilogueINS_24Default2DEpilogueProblemIfDF16bLb0ELb0ELb1EEEvEEEEJNSE_14BatchModeKargsEEEENSt9enable_ifIXnt26kattr_no_packed_fp32_ops_vIT_EEvE4typeEDpT2_.kd
    .uses_dynamic_stack: false
    .vgpr_count:     62
    .vgpr_spill_count: 0
    .wavefront_size: 64
amdhsa.target:   amdgcn-amd-amdhsa--gfx950
amdhsa.version:
  - 1
  - 2
...

	.end_amdgpu_metadata
